;; amdgpu-corpus repo=ROCm/rocFFT kind=compiled arch=gfx1030 opt=O3
	.text
	.amdgcn_target "amdgcn-amd-amdhsa--gfx1030"
	.amdhsa_code_object_version 6
	.protected	fft_rtc_back_len1400_factors_2_2_2_5_7_5_wgs_56_tpt_56_halfLds_dp_op_CI_CI_unitstride_sbrr_C2R_dirReg ; -- Begin function fft_rtc_back_len1400_factors_2_2_2_5_7_5_wgs_56_tpt_56_halfLds_dp_op_CI_CI_unitstride_sbrr_C2R_dirReg
	.globl	fft_rtc_back_len1400_factors_2_2_2_5_7_5_wgs_56_tpt_56_halfLds_dp_op_CI_CI_unitstride_sbrr_C2R_dirReg
	.p2align	8
	.type	fft_rtc_back_len1400_factors_2_2_2_5_7_5_wgs_56_tpt_56_halfLds_dp_op_CI_CI_unitstride_sbrr_C2R_dirReg,@function
fft_rtc_back_len1400_factors_2_2_2_5_7_5_wgs_56_tpt_56_halfLds_dp_op_CI_CI_unitstride_sbrr_C2R_dirReg: ; @fft_rtc_back_len1400_factors_2_2_2_5_7_5_wgs_56_tpt_56_halfLds_dp_op_CI_CI_unitstride_sbrr_C2R_dirReg
; %bb.0:
	s_clause 0x2
	s_load_dwordx4 s[12:15], s[4:5], 0x0
	s_load_dwordx4 s[8:11], s[4:5], 0x58
	;; [unrolled: 1-line block ×3, first 2 shown]
	v_mul_u32_u24_e32 v1, 0x493, v0
	v_mov_b32_e32 v3, 0
	v_add_nc_u32_sdwa v5, s6, v1 dst_sel:DWORD dst_unused:UNUSED_PAD src0_sel:DWORD src1_sel:WORD_1
	v_mov_b32_e32 v1, 0
	v_mov_b32_e32 v6, v3
	v_mov_b32_e32 v2, 0
	s_waitcnt lgkmcnt(0)
	v_cmp_lt_u64_e64 s0, s[14:15], 2
	s_and_b32 vcc_lo, exec_lo, s0
	s_cbranch_vccnz .LBB0_8
; %bb.1:
	s_load_dwordx2 s[0:1], s[4:5], 0x10
	v_mov_b32_e32 v1, 0
	v_mov_b32_e32 v2, 0
	s_add_u32 s2, s18, 8
	s_addc_u32 s3, s19, 0
	s_add_u32 s6, s16, 8
	s_addc_u32 s7, s17, 0
	v_mov_b32_e32 v185, v2
	v_mov_b32_e32 v184, v1
	s_mov_b64 s[22:23], 1
	s_waitcnt lgkmcnt(0)
	s_add_u32 s20, s0, 8
	s_addc_u32 s21, s1, 0
.LBB0_2:                                ; =>This Inner Loop Header: Depth=1
	s_load_dwordx2 s[24:25], s[20:21], 0x0
                                        ; implicit-def: $vgpr188_vgpr189
	s_mov_b32 s0, exec_lo
	s_waitcnt lgkmcnt(0)
	v_or_b32_e32 v4, s25, v6
	v_cmpx_ne_u64_e32 0, v[3:4]
	s_xor_b32 s1, exec_lo, s0
	s_cbranch_execz .LBB0_4
; %bb.3:                                ;   in Loop: Header=BB0_2 Depth=1
	v_cvt_f32_u32_e32 v4, s24
	v_cvt_f32_u32_e32 v7, s25
	s_sub_u32 s0, 0, s24
	s_subb_u32 s26, 0, s25
	v_fmac_f32_e32 v4, 0x4f800000, v7
	v_rcp_f32_e32 v4, v4
	v_mul_f32_e32 v4, 0x5f7ffffc, v4
	v_mul_f32_e32 v7, 0x2f800000, v4
	v_trunc_f32_e32 v7, v7
	v_fmac_f32_e32 v4, 0xcf800000, v7
	v_cvt_u32_f32_e32 v7, v7
	v_cvt_u32_f32_e32 v4, v4
	v_mul_lo_u32 v8, s0, v7
	v_mul_hi_u32 v9, s0, v4
	v_mul_lo_u32 v10, s26, v4
	v_add_nc_u32_e32 v8, v9, v8
	v_mul_lo_u32 v9, s0, v4
	v_add_nc_u32_e32 v8, v8, v10
	v_mul_hi_u32 v10, v4, v9
	v_mul_lo_u32 v11, v4, v8
	v_mul_hi_u32 v12, v4, v8
	v_mul_hi_u32 v13, v7, v9
	v_mul_lo_u32 v9, v7, v9
	v_mul_hi_u32 v14, v7, v8
	v_mul_lo_u32 v8, v7, v8
	v_add_co_u32 v10, vcc_lo, v10, v11
	v_add_co_ci_u32_e32 v11, vcc_lo, 0, v12, vcc_lo
	v_add_co_u32 v9, vcc_lo, v10, v9
	v_add_co_ci_u32_e32 v9, vcc_lo, v11, v13, vcc_lo
	v_add_co_ci_u32_e32 v10, vcc_lo, 0, v14, vcc_lo
	v_add_co_u32 v8, vcc_lo, v9, v8
	v_add_co_ci_u32_e32 v9, vcc_lo, 0, v10, vcc_lo
	v_add_co_u32 v4, vcc_lo, v4, v8
	v_add_co_ci_u32_e32 v7, vcc_lo, v7, v9, vcc_lo
	v_mul_hi_u32 v8, s0, v4
	v_mul_lo_u32 v10, s26, v4
	v_mul_lo_u32 v9, s0, v7
	v_add_nc_u32_e32 v8, v8, v9
	v_mul_lo_u32 v9, s0, v4
	v_add_nc_u32_e32 v8, v8, v10
	v_mul_hi_u32 v10, v4, v9
	v_mul_lo_u32 v11, v4, v8
	v_mul_hi_u32 v12, v4, v8
	v_mul_hi_u32 v13, v7, v9
	v_mul_lo_u32 v9, v7, v9
	v_mul_hi_u32 v14, v7, v8
	v_mul_lo_u32 v8, v7, v8
	v_add_co_u32 v10, vcc_lo, v10, v11
	v_add_co_ci_u32_e32 v11, vcc_lo, 0, v12, vcc_lo
	v_add_co_u32 v9, vcc_lo, v10, v9
	v_add_co_ci_u32_e32 v9, vcc_lo, v11, v13, vcc_lo
	v_add_co_ci_u32_e32 v10, vcc_lo, 0, v14, vcc_lo
	v_add_co_u32 v8, vcc_lo, v9, v8
	v_add_co_ci_u32_e32 v9, vcc_lo, 0, v10, vcc_lo
	v_add_co_u32 v4, vcc_lo, v4, v8
	v_add_co_ci_u32_e32 v11, vcc_lo, v7, v9, vcc_lo
	v_mul_hi_u32 v13, v5, v4
	v_mad_u64_u32 v[9:10], null, v6, v4, 0
	v_mad_u64_u32 v[7:8], null, v5, v11, 0
	;; [unrolled: 1-line block ×3, first 2 shown]
	v_add_co_u32 v4, vcc_lo, v13, v7
	v_add_co_ci_u32_e32 v7, vcc_lo, 0, v8, vcc_lo
	v_add_co_u32 v4, vcc_lo, v4, v9
	v_add_co_ci_u32_e32 v4, vcc_lo, v7, v10, vcc_lo
	v_add_co_ci_u32_e32 v7, vcc_lo, 0, v12, vcc_lo
	v_add_co_u32 v4, vcc_lo, v4, v11
	v_add_co_ci_u32_e32 v9, vcc_lo, 0, v7, vcc_lo
	v_mul_lo_u32 v10, s25, v4
	v_mad_u64_u32 v[7:8], null, s24, v4, 0
	v_mul_lo_u32 v11, s24, v9
	v_sub_co_u32 v7, vcc_lo, v5, v7
	v_add3_u32 v8, v8, v11, v10
	v_sub_nc_u32_e32 v10, v6, v8
	v_subrev_co_ci_u32_e64 v10, s0, s25, v10, vcc_lo
	v_add_co_u32 v11, s0, v4, 2
	v_add_co_ci_u32_e64 v12, s0, 0, v9, s0
	v_sub_co_u32 v13, s0, v7, s24
	v_sub_co_ci_u32_e32 v8, vcc_lo, v6, v8, vcc_lo
	v_subrev_co_ci_u32_e64 v10, s0, 0, v10, s0
	v_cmp_le_u32_e32 vcc_lo, s24, v13
	v_cmp_eq_u32_e64 s0, s25, v8
	v_cndmask_b32_e64 v13, 0, -1, vcc_lo
	v_cmp_le_u32_e32 vcc_lo, s25, v10
	v_cndmask_b32_e64 v14, 0, -1, vcc_lo
	v_cmp_le_u32_e32 vcc_lo, s24, v7
	;; [unrolled: 2-line block ×3, first 2 shown]
	v_cndmask_b32_e64 v15, 0, -1, vcc_lo
	v_cmp_eq_u32_e32 vcc_lo, s25, v10
	v_cndmask_b32_e64 v7, v15, v7, s0
	v_cndmask_b32_e32 v10, v14, v13, vcc_lo
	v_add_co_u32 v13, vcc_lo, v4, 1
	v_add_co_ci_u32_e32 v14, vcc_lo, 0, v9, vcc_lo
	v_cmp_ne_u32_e32 vcc_lo, 0, v10
	v_cndmask_b32_e32 v8, v14, v12, vcc_lo
	v_cndmask_b32_e32 v10, v13, v11, vcc_lo
	v_cmp_ne_u32_e32 vcc_lo, 0, v7
	v_cndmask_b32_e32 v189, v9, v8, vcc_lo
	v_cndmask_b32_e32 v188, v4, v10, vcc_lo
.LBB0_4:                                ;   in Loop: Header=BB0_2 Depth=1
	s_andn2_saveexec_b32 s0, s1
	s_cbranch_execz .LBB0_6
; %bb.5:                                ;   in Loop: Header=BB0_2 Depth=1
	v_cvt_f32_u32_e32 v4, s24
	s_sub_i32 s1, 0, s24
	v_mov_b32_e32 v189, v3
	v_rcp_iflag_f32_e32 v4, v4
	v_mul_f32_e32 v4, 0x4f7ffffe, v4
	v_cvt_u32_f32_e32 v4, v4
	v_mul_lo_u32 v7, s1, v4
	v_mul_hi_u32 v7, v4, v7
	v_add_nc_u32_e32 v4, v4, v7
	v_mul_hi_u32 v4, v5, v4
	v_mul_lo_u32 v7, v4, s24
	v_add_nc_u32_e32 v8, 1, v4
	v_sub_nc_u32_e32 v7, v5, v7
	v_subrev_nc_u32_e32 v9, s24, v7
	v_cmp_le_u32_e32 vcc_lo, s24, v7
	v_cndmask_b32_e32 v7, v7, v9, vcc_lo
	v_cndmask_b32_e32 v4, v4, v8, vcc_lo
	v_cmp_le_u32_e32 vcc_lo, s24, v7
	v_add_nc_u32_e32 v8, 1, v4
	v_cndmask_b32_e32 v188, v4, v8, vcc_lo
.LBB0_6:                                ;   in Loop: Header=BB0_2 Depth=1
	s_or_b32 exec_lo, exec_lo, s0
	v_mul_lo_u32 v4, v189, s24
	v_mul_lo_u32 v9, v188, s25
	s_load_dwordx2 s[0:1], s[6:7], 0x0
	v_mad_u64_u32 v[7:8], null, v188, s24, 0
	s_load_dwordx2 s[24:25], s[2:3], 0x0
	s_add_u32 s22, s22, 1
	s_addc_u32 s23, s23, 0
	s_add_u32 s2, s2, 8
	s_addc_u32 s3, s3, 0
	s_add_u32 s6, s6, 8
	v_add3_u32 v4, v8, v9, v4
	v_sub_co_u32 v5, vcc_lo, v5, v7
	s_addc_u32 s7, s7, 0
	s_add_u32 s20, s20, 8
	v_sub_co_ci_u32_e32 v4, vcc_lo, v6, v4, vcc_lo
	s_addc_u32 s21, s21, 0
	s_waitcnt lgkmcnt(0)
	v_mul_lo_u32 v6, s0, v4
	v_mul_lo_u32 v7, s1, v5
	v_mad_u64_u32 v[1:2], null, s0, v5, v[1:2]
	v_mul_lo_u32 v4, s24, v4
	v_mul_lo_u32 v8, s25, v5
	v_mad_u64_u32 v[184:185], null, s24, v5, v[184:185]
	v_cmp_ge_u64_e64 s0, s[22:23], s[14:15]
	v_add3_u32 v2, v7, v2, v6
	v_add3_u32 v185, v8, v185, v4
	s_and_b32 vcc_lo, exec_lo, s0
	s_cbranch_vccnz .LBB0_9
; %bb.7:                                ;   in Loop: Header=BB0_2 Depth=1
	v_mov_b32_e32 v5, v188
	v_mov_b32_e32 v6, v189
	s_branch .LBB0_2
.LBB0_8:
	v_mov_b32_e32 v185, v2
	v_mov_b32_e32 v189, v6
	;; [unrolled: 1-line block ×4, first 2 shown]
.LBB0_9:
	s_load_dwordx2 s[0:1], s[4:5], 0x28
	v_mul_hi_u32 v3, 0x4924925, v0
	s_lshl_b64 s[4:5], s[14:15], 3
                                        ; implicit-def: $vgpr186
	s_add_u32 s2, s18, s4
	s_addc_u32 s3, s19, s5
	s_waitcnt lgkmcnt(0)
	v_cmp_gt_u64_e32 vcc_lo, s[0:1], v[188:189]
	v_cmp_le_u64_e64 s0, s[0:1], v[188:189]
	s_and_saveexec_b32 s1, s0
	s_xor_b32 s0, exec_lo, s1
; %bb.10:
	v_mul_u32_u24_e32 v1, 56, v3
                                        ; implicit-def: $vgpr3
	v_sub_nc_u32_e32 v186, v0, v1
                                        ; implicit-def: $vgpr0
                                        ; implicit-def: $vgpr1_vgpr2
; %bb.11:
	s_or_saveexec_b32 s1, s0
	s_load_dwordx2 s[2:3], s[2:3], 0x0
	s_xor_b32 exec_lo, exec_lo, s1
	s_cbranch_execz .LBB0_15
; %bb.12:
	s_add_u32 s4, s16, s4
	s_addc_u32 s5, s17, s5
	v_mul_u32_u24_e32 v3, 56, v3
	s_load_dwordx2 s[4:5], s[4:5], 0x0
	v_sub_nc_u32_e32 v186, v0, v3
	v_lshlrev_b64 v[0:1], 4, v[1:2]
	v_lshlrev_b32_e32 v102, 4, v186
	v_or_b32_e32 v2, 0x1c00, v102
	v_or_b32_e32 v48, 0x5400, v102
	s_waitcnt lgkmcnt(0)
	v_mul_lo_u32 v6, s5, v188
	v_mul_lo_u32 v7, s4, v189
	v_mad_u64_u32 v[4:5], null, s4, v188, 0
	v_add3_u32 v5, v5, v7, v6
	v_lshlrev_b64 v[3:4], 4, v[4:5]
	v_or_b32_e32 v5, 0x3800, v102
	v_add_co_u32 v3, s0, s8, v3
	v_add_co_ci_u32_e64 v4, s0, s9, v4, s0
	v_add_co_u32 v0, s0, v3, v0
	v_add_co_ci_u32_e64 v1, s0, v4, v1, s0
	v_add_co_u32 v46, s0, v0, v102
	v_add_co_ci_u32_e64 v47, s0, 0, v1, s0
	v_add_co_u32 v38, s0, v0, v2
	v_add_co_ci_u32_e64 v39, s0, 0, v1, s0
	v_add_co_u32 v10, s0, v0, v5
	v_add_co_ci_u32_e64 v11, s0, 0, v1, s0
	v_add_co_u32 v22, s0, 0x800, v46
	v_add_co_ci_u32_e64 v23, s0, 0, v47, s0
	v_add_co_u32 v30, s0, 0x1000, v46
	v_add_co_ci_u32_e64 v31, s0, 0, v47, s0
	v_add_co_u32 v42, s0, 0x1800, v46
	v_add_co_ci_u32_e64 v43, s0, 0, v47, s0
	v_add_co_u32 v50, s0, 0x2000, v46
	v_add_co_ci_u32_e64 v51, s0, 0, v47, s0
	v_add_co_u32 v58, s0, 0x2800, v46
	v_add_co_ci_u32_e64 v59, s0, 0, v47, s0
	v_add_co_u32 v66, s0, 0x3000, v46
	v_add_co_ci_u32_e64 v67, s0, 0, v47, s0
	v_add_co_u32 v74, s0, 0x3800, v46
	v_add_co_ci_u32_e64 v75, s0, 0, v47, s0
	v_add_co_u32 v82, s0, 0x4000, v46
	v_add_co_ci_u32_e64 v83, s0, 0, v47, s0
	v_add_co_u32 v90, s0, 0x4800, v46
	v_add_co_ci_u32_e64 v91, s0, 0, v47, s0
	v_add_co_u32 v94, s0, 0x5000, v46
	v_add_co_ci_u32_e64 v95, s0, 0, v47, s0
	v_add_co_u32 v98, s0, v0, v48
	v_add_co_ci_u32_e64 v99, s0, 0, v1, s0
	s_clause 0x18
	global_load_dwordx4 v[2:5], v[46:47], off
	global_load_dwordx4 v[6:9], v[46:47], off offset:896
	global_load_dwordx4 v[10:13], v[10:11], off
	global_load_dwordx4 v[14:17], v[46:47], off offset:1792
	global_load_dwordx4 v[18:21], v[22:23], off offset:640
	global_load_dwordx4 v[22:25], v[22:23], off offset:1536
	global_load_dwordx4 v[26:29], v[30:31], off offset:384
	global_load_dwordx4 v[30:33], v[30:31], off offset:1280
	global_load_dwordx4 v[34:37], v[42:43], off offset:128
	global_load_dwordx4 v[38:41], v[38:39], off
	global_load_dwordx4 v[42:45], v[42:43], off offset:1920
	global_load_dwordx4 v[46:49], v[50:51], off offset:768
	;; [unrolled: 1-line block ×14, first 2 shown]
	global_load_dwordx4 v[98:101], v[98:99], off
	v_add_nc_u32_e32 v102, 0, v102
	v_cmp_eq_u32_e64 s0, 55, v186
	s_waitcnt vmcnt(24)
	ds_write_b128 v102, v[2:5]
	s_waitcnt vmcnt(23)
	ds_write_b128 v102, v[6:9] offset:896
	s_waitcnt vmcnt(21)
	ds_write_b128 v102, v[14:17] offset:1792
	;; [unrolled: 2-line block ×3, first 2 shown]
	ds_write_b128 v102, v[10:13] offset:14336
	ds_write_b128 v102, v[18:21] offset:2688
	;; [unrolled: 1-line block ×6, first 2 shown]
	s_waitcnt vmcnt(14)
	ds_write_b128 v102, v[42:45] offset:8064
	s_waitcnt vmcnt(13)
	ds_write_b128 v102, v[46:49] offset:8960
	;; [unrolled: 2-line block ×15, first 2 shown]
	s_and_saveexec_b32 s4, s0
	s_cbranch_execz .LBB0_14
; %bb.13:
	v_add_co_u32 v0, s0, 0x5000, v0
	v_add_co_ci_u32_e64 v1, s0, 0, v1, s0
	v_mov_b32_e32 v4, 0
	v_mov_b32_e32 v186, 55
	global_load_dwordx4 v[0:3], v[0:1], off offset:1920
	s_waitcnt vmcnt(0)
	ds_write_b128 v4, v[0:3] offset:22400
.LBB0_14:
	s_or_b32 exec_lo, exec_lo, s4
.LBB0_15:
	s_or_b32 exec_lo, exec_lo, s1
	v_lshlrev_b32_e32 v0, 4, v186
	s_waitcnt lgkmcnt(0)
	s_barrier
	buffer_gl0_inv
	s_add_u32 s1, s12, 0x5760
	v_add_nc_u32_e32 v192, 0, v0
	v_sub_nc_u32_e32 v10, 0, v0
	s_addc_u32 s4, s13, 0
	s_mov_b32 s5, exec_lo
                                        ; implicit-def: $vgpr4_vgpr5
	ds_read_b64 v[6:7], v192
	ds_read_b64 v[8:9], v10 offset:22400
	s_waitcnt lgkmcnt(0)
	v_add_f64 v[0:1], v[6:7], v[8:9]
	v_add_f64 v[2:3], v[6:7], -v[8:9]
	v_cmpx_ne_u32_e32 0, v186
	s_xor_b32 s5, exec_lo, s5
	s_cbranch_execz .LBB0_17
; %bb.16:
	v_mov_b32_e32 v187, 0
	v_add_f64 v[13:14], v[6:7], v[8:9]
	v_add_f64 v[15:16], v[6:7], -v[8:9]
	v_lshlrev_b64 v[0:1], 4, v[186:187]
	v_add_co_u32 v0, s0, s1, v0
	v_add_co_ci_u32_e64 v1, s0, s4, v1, s0
	global_load_dwordx4 v[2:5], v[0:1], off
	ds_read_b64 v[0:1], v10 offset:22408
	ds_read_b64 v[11:12], v192 offset:8
	s_waitcnt lgkmcnt(0)
	v_add_f64 v[6:7], v[0:1], v[11:12]
	v_add_f64 v[0:1], v[11:12], -v[0:1]
	s_waitcnt vmcnt(0)
	v_fma_f64 v[8:9], v[15:16], v[4:5], v[13:14]
	v_fma_f64 v[11:12], -v[15:16], v[4:5], v[13:14]
	v_fma_f64 v[13:14], v[6:7], v[4:5], -v[0:1]
	v_fma_f64 v[4:5], v[6:7], v[4:5], v[0:1]
	v_fma_f64 v[0:1], -v[6:7], v[2:3], v[8:9]
	v_fma_f64 v[6:7], v[6:7], v[2:3], v[11:12]
	v_fma_f64 v[8:9], v[15:16], v[2:3], v[13:14]
	;; [unrolled: 1-line block ×3, first 2 shown]
	v_mov_b32_e32 v4, v186
	v_mov_b32_e32 v5, v187
	ds_write_b128 v10, v[6:9] offset:22400
.LBB0_17:
	s_andn2_saveexec_b32 s0, s5
	s_cbranch_execz .LBB0_19
; %bb.18:
	v_mov_b32_e32 v8, 0
	ds_read_b128 v[4:7], v8 offset:11200
	s_waitcnt lgkmcnt(0)
	v_add_f64 v[11:12], v[4:5], v[4:5]
	v_mul_f64 v[13:14], v[6:7], -2.0
	v_mov_b32_e32 v4, 0
	v_mov_b32_e32 v5, 0
	ds_write_b128 v8, v[11:14] offset:11200
.LBB0_19:
	s_or_b32 exec_lo, exec_lo, s0
	v_lshlrev_b64 v[4:5], 4, v[4:5]
	v_or_b32_e32 v104, 0x1c0, v186
	v_mov_b32_e32 v105, 0
	v_add_co_u32 v4, s0, s1, v4
	v_add_co_ci_u32_e64 v5, s0, s4, v5, s0
	s_clause 0x1
	global_load_dwordx4 v[6:9], v[4:5], off offset:896
	global_load_dwordx4 v[11:14], v[4:5], off offset:1792
	v_add_co_u32 v23, s0, 0x800, v4
	v_add_co_ci_u32_e64 v24, s0, 0, v5, s0
	ds_write_b128 v192, v[0:3]
	global_load_dwordx4 v[15:18], v[23:24], off offset:640
	ds_read_b128 v[0:3], v192 offset:896
	ds_read_b128 v[19:22], v10 offset:21504
	global_load_dwordx4 v[23:26], v[23:24], off offset:1536
	s_waitcnt lgkmcnt(0)
	v_add_f64 v[27:28], v[0:1], v[19:20]
	v_add_f64 v[29:30], v[21:22], v[2:3]
	v_add_f64 v[31:32], v[0:1], -v[19:20]
	v_add_f64 v[0:1], v[2:3], -v[21:22]
	s_waitcnt vmcnt(3)
	v_fma_f64 v[2:3], v[31:32], v[8:9], v[27:28]
	v_fma_f64 v[19:20], v[29:30], v[8:9], v[0:1]
	v_fma_f64 v[21:22], -v[31:32], v[8:9], v[27:28]
	v_fma_f64 v[8:9], v[29:30], v[8:9], -v[0:1]
	v_add_co_u32 v27, s0, 0x1000, v4
	v_add_co_ci_u32_e64 v28, s0, 0, v5, s0
	v_fma_f64 v[0:1], -v[29:30], v[6:7], v[2:3]
	v_fma_f64 v[2:3], v[31:32], v[6:7], v[19:20]
	v_fma_f64 v[19:20], v[29:30], v[6:7], v[21:22]
	;; [unrolled: 1-line block ×3, first 2 shown]
	ds_write_b128 v192, v[0:3] offset:896
	ds_write_b128 v10, v[19:22] offset:21504
	ds_read_b128 v[0:3], v192 offset:1792
	ds_read_b128 v[6:9], v10 offset:20608
	global_load_dwordx4 v[19:22], v[27:28], off offset:384
	s_waitcnt lgkmcnt(0)
	v_add_f64 v[29:30], v[0:1], v[6:7]
	v_add_f64 v[31:32], v[8:9], v[2:3]
	v_add_f64 v[33:34], v[0:1], -v[6:7]
	v_add_f64 v[0:1], v[2:3], -v[8:9]
	s_waitcnt vmcnt(3)
	v_fma_f64 v[2:3], v[33:34], v[13:14], v[29:30]
	v_fma_f64 v[6:7], v[31:32], v[13:14], v[0:1]
	v_fma_f64 v[8:9], -v[33:34], v[13:14], v[29:30]
	v_fma_f64 v[13:14], v[31:32], v[13:14], -v[0:1]
	v_fma_f64 v[0:1], -v[31:32], v[11:12], v[2:3]
	v_fma_f64 v[2:3], v[33:34], v[11:12], v[6:7]
	v_fma_f64 v[6:7], v[31:32], v[11:12], v[8:9]
	;; [unrolled: 1-line block ×3, first 2 shown]
	ds_write_b128 v192, v[0:3] offset:1792
	ds_write_b128 v10, v[6:9] offset:20608
	ds_read_b128 v[0:3], v192 offset:2688
	ds_read_b128 v[6:9], v10 offset:19712
	global_load_dwordx4 v[11:14], v[27:28], off offset:1280
	s_waitcnt lgkmcnt(0)
	v_add_f64 v[27:28], v[0:1], v[6:7]
	v_add_f64 v[29:30], v[8:9], v[2:3]
	v_add_f64 v[31:32], v[0:1], -v[6:7]
	v_add_f64 v[0:1], v[2:3], -v[8:9]
	s_waitcnt vmcnt(3)
	v_fma_f64 v[2:3], v[31:32], v[17:18], v[27:28]
	v_fma_f64 v[6:7], v[29:30], v[17:18], v[0:1]
	v_fma_f64 v[8:9], -v[31:32], v[17:18], v[27:28]
	v_fma_f64 v[17:18], v[29:30], v[17:18], -v[0:1]
	v_add_co_u32 v27, s0, 0x1800, v4
	v_add_co_ci_u32_e64 v28, s0, 0, v5, s0
	v_fma_f64 v[0:1], -v[29:30], v[15:16], v[2:3]
	v_fma_f64 v[2:3], v[31:32], v[15:16], v[6:7]
	v_fma_f64 v[6:7], v[29:30], v[15:16], v[8:9]
	;; [unrolled: 1-line block ×3, first 2 shown]
	ds_write_b128 v192, v[0:3] offset:2688
	ds_write_b128 v10, v[6:9] offset:19712
	ds_read_b128 v[0:3], v192 offset:3584
	ds_read_b128 v[6:9], v10 offset:18816
	global_load_dwordx4 v[15:18], v[27:28], off offset:128
	s_waitcnt lgkmcnt(0)
	v_add_f64 v[29:30], v[0:1], v[6:7]
	v_add_f64 v[31:32], v[8:9], v[2:3]
	v_add_f64 v[33:34], v[0:1], -v[6:7]
	v_add_f64 v[0:1], v[2:3], -v[8:9]
	s_waitcnt vmcnt(3)
	v_fma_f64 v[2:3], v[33:34], v[25:26], v[29:30]
	v_fma_f64 v[6:7], v[31:32], v[25:26], v[0:1]
	v_fma_f64 v[8:9], -v[33:34], v[25:26], v[29:30]
	v_fma_f64 v[25:26], v[31:32], v[25:26], -v[0:1]
	v_fma_f64 v[0:1], -v[31:32], v[23:24], v[2:3]
	v_fma_f64 v[2:3], v[33:34], v[23:24], v[6:7]
	v_fma_f64 v[6:7], v[31:32], v[23:24], v[8:9]
	;; [unrolled: 1-line block ×3, first 2 shown]
	v_lshlrev_b64 v[23:24], 4, v[104:105]
	ds_write_b128 v192, v[0:3] offset:3584
	ds_write_b128 v10, v[6:9] offset:18816
	v_add_co_u32 v23, s0, s1, v23
	v_add_co_ci_u32_e64 v24, s0, s4, v24, s0
	ds_read_b128 v[0:3], v192 offset:4480
	ds_read_b128 v[6:9], v10 offset:17920
	global_load_dwordx4 v[23:26], v[23:24], off
	s_waitcnt lgkmcnt(0)
	v_add_f64 v[29:30], v[0:1], v[6:7]
	v_add_f64 v[31:32], v[8:9], v[2:3]
	v_add_f64 v[33:34], v[0:1], -v[6:7]
	v_add_f64 v[0:1], v[2:3], -v[8:9]
	s_waitcnt vmcnt(3)
	v_fma_f64 v[2:3], v[33:34], v[21:22], v[29:30]
	v_fma_f64 v[6:7], v[31:32], v[21:22], v[0:1]
	v_fma_f64 v[8:9], -v[33:34], v[21:22], v[29:30]
	v_fma_f64 v[21:22], v[31:32], v[21:22], -v[0:1]
	v_fma_f64 v[0:1], -v[31:32], v[19:20], v[2:3]
	v_fma_f64 v[2:3], v[33:34], v[19:20], v[6:7]
	v_fma_f64 v[6:7], v[31:32], v[19:20], v[8:9]
	;; [unrolled: 1-line block ×3, first 2 shown]
	ds_write_b128 v192, v[0:3] offset:4480
	ds_write_b128 v10, v[6:9] offset:17920
	ds_read_b128 v[0:3], v192 offset:5376
	ds_read_b128 v[6:9], v10 offset:17024
	global_load_dwordx4 v[19:22], v[27:28], off offset:1920
	s_waitcnt lgkmcnt(0)
	v_add_f64 v[27:28], v[0:1], v[6:7]
	v_add_f64 v[29:30], v[8:9], v[2:3]
	v_add_f64 v[31:32], v[0:1], -v[6:7]
	v_add_f64 v[0:1], v[2:3], -v[8:9]
	s_waitcnt vmcnt(3)
	v_fma_f64 v[2:3], v[31:32], v[13:14], v[27:28]
	v_fma_f64 v[6:7], v[29:30], v[13:14], v[0:1]
	v_fma_f64 v[8:9], -v[31:32], v[13:14], v[27:28]
	v_fma_f64 v[13:14], v[29:30], v[13:14], -v[0:1]
	v_add_co_u32 v27, s0, 0x2000, v4
	v_add_co_ci_u32_e64 v28, s0, 0, v5, s0
	v_cmp_gt_u32_e64 s0, 28, v186
	v_fma_f64 v[0:1], -v[29:30], v[11:12], v[2:3]
	v_fma_f64 v[2:3], v[31:32], v[11:12], v[6:7]
	v_fma_f64 v[6:7], v[29:30], v[11:12], v[8:9]
	;; [unrolled: 1-line block ×3, first 2 shown]
	ds_write_b128 v192, v[0:3] offset:5376
	ds_write_b128 v10, v[6:9] offset:17024
	ds_read_b128 v[0:3], v192 offset:6272
	ds_read_b128 v[6:9], v10 offset:16128
	global_load_dwordx4 v[11:14], v[27:28], off offset:768
	s_waitcnt lgkmcnt(0)
	v_add_f64 v[29:30], v[0:1], v[6:7]
	v_add_f64 v[31:32], v[8:9], v[2:3]
	v_add_f64 v[33:34], v[0:1], -v[6:7]
	v_add_f64 v[0:1], v[2:3], -v[8:9]
	s_waitcnt vmcnt(3)
	v_fma_f64 v[2:3], v[33:34], v[17:18], v[29:30]
	v_fma_f64 v[6:7], v[31:32], v[17:18], v[0:1]
	v_fma_f64 v[8:9], -v[33:34], v[17:18], v[29:30]
	v_fma_f64 v[17:18], v[31:32], v[17:18], -v[0:1]
	v_fma_f64 v[0:1], -v[31:32], v[15:16], v[2:3]
	v_fma_f64 v[2:3], v[33:34], v[15:16], v[6:7]
	v_fma_f64 v[6:7], v[31:32], v[15:16], v[8:9]
	;; [unrolled: 1-line block ×3, first 2 shown]
	ds_write_b128 v192, v[0:3] offset:6272
	ds_write_b128 v10, v[6:9] offset:16128
	ds_read_b128 v[0:3], v192 offset:7168
	ds_read_b128 v[6:9], v10 offset:15232
	global_load_dwordx4 v[15:18], v[27:28], off offset:1664
	s_waitcnt lgkmcnt(0)
	v_add_f64 v[27:28], v[0:1], v[6:7]
	v_add_f64 v[29:30], v[8:9], v[2:3]
	v_add_f64 v[31:32], v[0:1], -v[6:7]
	v_add_f64 v[0:1], v[2:3], -v[8:9]
	s_waitcnt vmcnt(3)
	v_fma_f64 v[2:3], v[31:32], v[25:26], v[27:28]
	v_fma_f64 v[6:7], v[29:30], v[25:26], v[0:1]
	v_fma_f64 v[8:9], -v[31:32], v[25:26], v[27:28]
	v_fma_f64 v[25:26], v[29:30], v[25:26], -v[0:1]
	v_fma_f64 v[0:1], -v[29:30], v[23:24], v[2:3]
	v_fma_f64 v[2:3], v[31:32], v[23:24], v[6:7]
	v_fma_f64 v[6:7], v[29:30], v[23:24], v[8:9]
	v_fma_f64 v[8:9], v[31:32], v[23:24], v[25:26]
	ds_write_b128 v192, v[0:3] offset:7168
	ds_write_b128 v10, v[6:9] offset:15232
	ds_read_b128 v[0:3], v192 offset:8064
	ds_read_b128 v[6:9], v10 offset:14336
	s_waitcnt lgkmcnt(0)
	v_add_f64 v[23:24], v[0:1], v[6:7]
	v_add_f64 v[25:26], v[8:9], v[2:3]
	v_add_f64 v[27:28], v[0:1], -v[6:7]
	v_add_f64 v[0:1], v[2:3], -v[8:9]
	s_waitcnt vmcnt(2)
	v_fma_f64 v[2:3], v[27:28], v[21:22], v[23:24]
	v_fma_f64 v[6:7], v[25:26], v[21:22], v[0:1]
	v_fma_f64 v[8:9], -v[27:28], v[21:22], v[23:24]
	v_fma_f64 v[21:22], v[25:26], v[21:22], -v[0:1]
	v_fma_f64 v[0:1], -v[25:26], v[19:20], v[2:3]
	v_fma_f64 v[2:3], v[27:28], v[19:20], v[6:7]
	v_fma_f64 v[6:7], v[25:26], v[19:20], v[8:9]
	v_fma_f64 v[8:9], v[27:28], v[19:20], v[21:22]
	ds_write_b128 v192, v[0:3] offset:8064
	ds_write_b128 v10, v[6:9] offset:14336
	ds_read_b128 v[0:3], v192 offset:8960
	ds_read_b128 v[6:9], v10 offset:13440
	;; [unrolled: 18-line block ×3, first 2 shown]
	s_waitcnt lgkmcnt(0)
	v_add_f64 v[11:12], v[0:1], v[6:7]
	v_add_f64 v[13:14], v[8:9], v[2:3]
	v_add_f64 v[19:20], v[0:1], -v[6:7]
	v_add_f64 v[0:1], v[2:3], -v[8:9]
	s_waitcnt vmcnt(0)
	v_fma_f64 v[2:3], v[19:20], v[17:18], v[11:12]
	v_fma_f64 v[6:7], v[13:14], v[17:18], v[0:1]
	v_fma_f64 v[8:9], -v[19:20], v[17:18], v[11:12]
	v_fma_f64 v[11:12], v[13:14], v[17:18], -v[0:1]
	v_fma_f64 v[0:1], -v[13:14], v[15:16], v[2:3]
	v_fma_f64 v[2:3], v[19:20], v[15:16], v[6:7]
	v_fma_f64 v[6:7], v[13:14], v[15:16], v[8:9]
	;; [unrolled: 1-line block ×3, first 2 shown]
	ds_write_b128 v192, v[0:3] offset:9856
	ds_write_b128 v10, v[6:9] offset:12544
	s_and_saveexec_b32 s4, s0
	s_cbranch_execz .LBB0_21
; %bb.20:
	v_add_co_u32 v0, s1, 0x2800, v4
	v_add_co_ci_u32_e64 v1, s1, 0, v5, s1
	global_load_dwordx4 v[0:3], v[0:1], off offset:512
	ds_read_b128 v[4:7], v192 offset:10752
	ds_read_b128 v[11:14], v10 offset:11648
	s_waitcnt lgkmcnt(0)
	v_add_f64 v[8:9], v[4:5], v[11:12]
	v_add_f64 v[15:16], v[13:14], v[6:7]
	v_add_f64 v[11:12], v[4:5], -v[11:12]
	v_add_f64 v[4:5], v[6:7], -v[13:14]
	s_waitcnt vmcnt(0)
	v_fma_f64 v[6:7], v[11:12], v[2:3], v[8:9]
	v_fma_f64 v[13:14], v[15:16], v[2:3], v[4:5]
	v_fma_f64 v[8:9], -v[11:12], v[2:3], v[8:9]
	v_fma_f64 v[17:18], v[15:16], v[2:3], -v[4:5]
	v_fma_f64 v[2:3], -v[15:16], v[0:1], v[6:7]
	v_fma_f64 v[4:5], v[11:12], v[0:1], v[13:14]
	v_fma_f64 v[6:7], v[15:16], v[0:1], v[8:9]
	;; [unrolled: 1-line block ×3, first 2 shown]
	ds_write_b128 v192, v[2:5] offset:10752
	ds_write_b128 v10, v[6:9] offset:11648
.LBB0_21:
	s_or_b32 exec_lo, exec_lo, s4
	s_waitcnt lgkmcnt(0)
	s_barrier
	buffer_gl0_inv
	s_barrier
	buffer_gl0_inv
	ds_read_b128 v[0:3], v192 offset:11200
	ds_read_b128 v[4:7], v192
	ds_read_b128 v[8:11], v192 offset:896
	ds_read_b128 v[12:15], v192 offset:12096
	;; [unrolled: 1-line block ×24, first 2 shown]
	v_add_nc_u32_e32 v195, 56, v186
	v_add_nc_u32_e32 v194, 0x70, v186
	;; [unrolled: 1-line block ×3, first 2 shown]
	v_lshl_add_u32 v105, v186, 5, 0
	s_waitcnt lgkmcnt(0)
	v_lshl_add_u32 v106, v195, 5, 0
	v_lshl_add_u32 v107, v194, 5, 0
	v_add_f64 v[48:49], v[44:45], -v[48:49]
	v_add_f64 v[50:51], v[46:47], -v[50:51]
	;; [unrolled: 1-line block ×12, first 2 shown]
	s_barrier
	buffer_gl0_inv
	v_lshl_add_u32 v108, v193, 5, 0
	v_add_nc_u32_e32 v187, 0xe0, v186
	v_add_nc_u32_e32 v117, 0x1f8, v186
	;; [unrolled: 1-line block ×5, first 2 shown]
	v_fma_f64 v[4:5], v[4:5], 2.0, -v[0:1]
	v_fma_f64 v[6:7], v[6:7], 2.0, -v[2:3]
	;; [unrolled: 1-line block ×8, first 2 shown]
	ds_write_b128 v105, v[0:3] offset:16
	ds_write_b128 v106, v[12:15] offset:16
	ds_write_b128 v105, v[4:7]
	ds_write_b128 v106, v[8:11]
	ds_write_b128 v107, v[16:19] offset:16
	ds_write_b128 v107, v[20:23]
	ds_write_b128 v108, v[24:27]
	v_add_f64 v[8:9], v[56:57], -v[52:53]
	v_add_f64 v[10:11], v[58:59], -v[54:55]
	;; [unrolled: 1-line block ×6, first 2 shown]
	v_fma_f64 v[0:1], v[40:41], 2.0, -v[36:37]
	v_fma_f64 v[2:3], v[42:43], 2.0, -v[38:39]
	v_add_f64 v[24:25], v[76:77], -v[80:81]
	v_add_f64 v[26:27], v[78:79], -v[82:83]
	;; [unrolled: 1-line block ×4, first 2 shown]
	v_fma_f64 v[16:17], v[44:45], 2.0, -v[48:49]
	v_fma_f64 v[18:19], v[46:47], 2.0, -v[50:51]
	v_add_f64 v[40:41], v[88:89], -v[84:85]
	v_add_f64 v[42:43], v[90:91], -v[86:87]
	;; [unrolled: 1-line block ×4, first 2 shown]
	v_add_nc_u32_e32 v105, 0x118, v186
	v_lshl_add_u32 v64, v187, 5, 0
	v_add_nc_u32_e32 v106, 0x150, v186
	v_add_nc_u32_e32 v107, 0x188, v186
	v_fma_f64 v[52:53], v[56:57], 2.0, -v[8:9]
	v_fma_f64 v[54:55], v[58:59], 2.0, -v[10:11]
	v_lshl_add_u32 v65, v105, 5, 0
	v_fma_f64 v[56:57], v[60:61], 2.0, -v[12:13]
	v_fma_f64 v[58:59], v[62:63], 2.0, -v[14:15]
	ds_write_b128 v108, v[28:31] offset:16
	ds_write_b128 v64, v[0:3]
	ds_write_b128 v64, v[36:39] offset:16
	ds_write_b128 v65, v[16:19]
	v_fma_f64 v[16:17], v[72:73], 2.0, -v[20:21]
	v_fma_f64 v[18:19], v[74:75], 2.0, -v[22:23]
	;; [unrolled: 1-line block ×10, first 2 shown]
	v_lshl_add_u32 v64, v106, 5, 0
	v_lshl_add_u32 v32, v107, 5, 0
	ds_write_b128 v65, v[48:51] offset:16
	ds_write_b128 v64, v[52:55]
	ds_write_b128 v64, v[8:11] offset:16
	ds_write_b128 v32, v[56:59]
	v_lshl_add_u32 v8, v104, 5, 0
	v_lshl_add_u32 v9, v117, 5, 0
	;; [unrolled: 1-line block ×3, first 2 shown]
	ds_write_b128 v32, v[12:15] offset:16
	ds_write_b128 v8, v[20:23] offset:16
	ds_write_b128 v8, v[16:19]
	v_lshl_add_u32 v8, v119, 5, 0
	ds_write_b128 v9, v[28:31]
	ds_write_b128 v9, v[24:27] offset:16
	ds_write_b128 v10, v[36:39]
	ds_write_b128 v10, v[40:43] offset:16
	;; [unrolled: 2-line block ×3, first 2 shown]
	s_and_saveexec_b32 s1, s0
	s_cbranch_execz .LBB0_23
; %bb.22:
	v_lshl_add_u32 v8, v116, 5, 0
	ds_write_b128 v8, v[0:3]
	ds_write_b128 v8, v[4:7] offset:16
.LBB0_23:
	s_or_b32 exec_lo, exec_lo, s1
	s_waitcnt lgkmcnt(0)
	s_barrier
	buffer_gl0_inv
	ds_read_b128 v[12:15], v192
	ds_read_b128 v[8:11], v192 offset:896
	ds_read_b128 v[60:63], v192 offset:11200
	;; [unrolled: 1-line block ×23, first 2 shown]
	v_lshlrev_b32_e32 v115, 1, v186
	v_lshlrev_b32_e32 v114, 1, v195
	;; [unrolled: 1-line block ×12, first 2 shown]
	s_and_saveexec_b32 s1, s0
	s_cbranch_execz .LBB0_25
; %bb.24:
	ds_read_b128 v[0:3], v192 offset:10752
	ds_read_b128 v[4:7], v192 offset:21952
.LBB0_25:
	s_or_b32 exec_lo, exec_lo, s1
	v_and_b32_e32 v117, 1, v186
	v_lshlrev_b32_e32 v116, 1, v116
	v_lshlrev_b32_e32 v118, 4, v117
	v_and_or_b32 v122, 0x7c, v115, v117
	v_and_or_b32 v123, 0xfc, v114, v117
	;; [unrolled: 1-line block ×4, first 2 shown]
	global_load_dwordx4 v[118:121], v118, s[12:13]
	v_and_or_b32 v126, 0x3fc, v111, v117
	v_and_or_b32 v127, 0x2fc, v110, v117
	;; [unrolled: 1-line block ×8, first 2 shown]
	v_lshl_add_u32 v172, v122, 4, 0
	v_lshl_add_u32 v173, v123, 4, 0
	v_lshl_add_u32 v174, v124, 4, 0
	v_lshl_add_u32 v175, v125, 4, 0
	v_lshl_add_u32 v176, v126, 4, 0
	v_lshl_add_u32 v177, v127, 4, 0
	v_lshl_add_u32 v178, v128, 4, 0
	v_lshl_add_u32 v179, v129, 4, 0
	v_lshl_add_u32 v180, v130, 4, 0
	v_lshl_add_u32 v181, v131, 4, 0
	v_lshl_add_u32 v182, v132, 4, 0
	v_lshl_add_u32 v183, v133, 4, 0
	s_waitcnt vmcnt(0) lgkmcnt(0)
	s_barrier
	buffer_gl0_inv
	v_mul_f64 v[122:123], v[62:63], v[120:121]
	v_mul_f64 v[124:125], v[60:61], v[120:121]
	;; [unrolled: 1-line block ×26, first 2 shown]
	v_fma_f64 v[60:61], v[60:61], v[118:119], v[122:123]
	v_fma_f64 v[62:63], v[62:63], v[118:119], -v[124:125]
	v_fma_f64 v[56:57], v[56:57], v[118:119], v[126:127]
	v_fma_f64 v[58:59], v[58:59], v[118:119], -v[128:129]
	;; [unrolled: 2-line block ×13, first 2 shown]
	v_add_f64 v[4:5], v[12:13], -v[60:61]
	v_add_f64 v[6:7], v[14:15], -v[62:63]
	v_add_f64 v[60:61], v[8:9], -v[56:57]
	v_add_f64 v[62:63], v[10:11], -v[58:59]
	v_add_f64 v[64:65], v[16:17], -v[68:69]
	v_add_f64 v[66:67], v[18:19], -v[70:71]
	v_add_f64 v[68:69], v[20:21], -v[122:123]
	v_add_f64 v[70:71], v[22:23], -v[124:125]
	v_add_f64 v[72:73], v[24:25], -v[76:77]
	v_add_f64 v[74:75], v[26:27], -v[78:79]
	v_add_f64 v[76:77], v[28:29], -v[126:127]
	v_add_f64 v[78:79], v[30:31], -v[128:129]
	v_add_f64 v[80:81], v[32:33], -v[84:85]
	v_add_f64 v[82:83], v[34:35], -v[86:87]
	v_add_f64 v[84:85], v[36:37], -v[130:131]
	v_add_f64 v[86:87], v[38:39], -v[132:133]
	v_add_f64 v[88:89], v[40:41], -v[92:93]
	v_add_f64 v[90:91], v[42:43], -v[94:95]
	v_add_f64 v[92:93], v[44:45], -v[134:135]
	v_add_f64 v[94:95], v[46:47], -v[136:137]
	v_add_f64 v[56:57], v[0:1], -v[142:143]
	v_add_f64 v[58:59], v[2:3], -v[118:119]
	v_add_f64 v[96:97], v[48:49], -v[100:101]
	v_add_f64 v[98:99], v[50:51], -v[102:103]
	v_add_f64 v[100:101], v[52:53], -v[138:139]
	v_add_f64 v[102:103], v[54:55], -v[140:141]
	v_fma_f64 v[12:13], v[12:13], 2.0, -v[4:5]
	v_fma_f64 v[14:15], v[14:15], 2.0, -v[6:7]
	ds_write_b128 v172, v[4:7] offset:32
	v_fma_f64 v[8:9], v[8:9], 2.0, -v[60:61]
	v_fma_f64 v[10:11], v[10:11], 2.0, -v[62:63]
	;; [unrolled: 1-line block ×24, first 2 shown]
	ds_write_b128 v172, v[12:15]
	ds_write_b128 v173, v[8:11]
	ds_write_b128 v173, v[60:63] offset:32
	ds_write_b128 v174, v[16:19]
	ds_write_b128 v174, v[64:67] offset:32
	;; [unrolled: 2-line block ×11, first 2 shown]
	s_and_saveexec_b32 s1, s0
	s_cbranch_execz .LBB0_27
; %bb.26:
	v_and_or_b32 v0, 0x57c, v116, v117
	v_lshl_add_u32 v0, v0, 4, 0
	ds_write_b128 v0, v[4:7]
	ds_write_b128 v0, v[56:59] offset:32
.LBB0_27:
	s_or_b32 exec_lo, exec_lo, s1
	s_waitcnt lgkmcnt(0)
	s_barrier
	buffer_gl0_inv
	ds_read_b128 v[8:11], v192
	ds_read_b128 v[12:15], v192 offset:896
	ds_read_b128 v[60:63], v192 offset:11200
	;; [unrolled: 1-line block ×23, first 2 shown]
	s_and_saveexec_b32 s1, s0
	s_cbranch_execz .LBB0_29
; %bb.28:
	ds_read_b128 v[4:7], v192 offset:10752
	ds_read_b128 v[56:59], v192 offset:21952
.LBB0_29:
	s_or_b32 exec_lo, exec_lo, s1
	v_and_b32_e32 v117, 3, v186
	v_lshlrev_b32_e32 v118, 4, v117
	v_and_or_b32 v107, 0x3f8, v107, v117
	v_and_or_b32 v106, 0x7f8, v106, v117
	;; [unrolled: 1-line block ×4, first 2 shown]
	global_load_dwordx4 v[118:121], v118, s[12:13] offset:32
	v_and_or_b32 v111, 0x3f8, v111, v117
	v_and_or_b32 v110, 0x2f8, v110, v117
	;; [unrolled: 1-line block ×8, first 2 shown]
	v_lshl_add_u32 v168, v107, 4, 0
	v_lshl_add_u32 v169, v106, 4, 0
	;; [unrolled: 1-line block ×12, first 2 shown]
	s_waitcnt vmcnt(0) lgkmcnt(0)
	s_barrier
	buffer_gl0_inv
	v_mul_f64 v[104:105], v[62:63], v[120:121]
	v_mul_f64 v[106:107], v[60:61], v[120:121]
	v_mul_f64 v[108:109], v[2:3], v[120:121]
	v_mul_f64 v[110:111], v[0:1], v[120:121]
	v_mul_f64 v[112:113], v[70:71], v[120:121]
	v_mul_f64 v[114:115], v[68:69], v[120:121]
	v_mul_f64 v[122:123], v[66:67], v[120:121]
	v_mul_f64 v[124:125], v[64:65], v[120:121]
	v_mul_f64 v[126:127], v[78:79], v[120:121]
	v_mul_f64 v[128:129], v[76:77], v[120:121]
	v_mul_f64 v[130:131], v[74:75], v[120:121]
	v_mul_f64 v[132:133], v[72:73], v[120:121]
	v_mul_f64 v[134:135], v[86:87], v[120:121]
	v_mul_f64 v[136:137], v[84:85], v[120:121]
	v_mul_f64 v[138:139], v[82:83], v[120:121]
	v_mul_f64 v[140:141], v[80:81], v[120:121]
	v_mul_f64 v[142:143], v[94:95], v[120:121]
	v_mul_f64 v[144:145], v[92:93], v[120:121]
	v_mul_f64 v[146:147], v[90:91], v[120:121]
	v_mul_f64 v[148:149], v[88:89], v[120:121]
	v_mul_f64 v[150:151], v[102:103], v[120:121]
	v_mul_f64 v[152:153], v[100:101], v[120:121]
	v_mul_f64 v[154:155], v[98:99], v[120:121]
	v_mul_f64 v[156:157], v[96:97], v[120:121]
	v_mul_f64 v[158:159], v[58:59], v[120:121]
	v_mul_f64 v[120:121], v[56:57], v[120:121]
	v_fma_f64 v[60:61], v[60:61], v[118:119], v[104:105]
	v_fma_f64 v[62:63], v[62:63], v[118:119], -v[106:107]
	v_fma_f64 v[0:1], v[0:1], v[118:119], v[108:109]
	v_fma_f64 v[2:3], v[2:3], v[118:119], -v[110:111]
	v_fma_f64 v[68:69], v[68:69], v[118:119], v[112:113]
	v_fma_f64 v[70:71], v[70:71], v[118:119], -v[114:115]
	v_fma_f64 v[104:105], v[64:65], v[118:119], v[122:123]
	v_fma_f64 v[106:107], v[66:67], v[118:119], -v[124:125]
	v_fma_f64 v[76:77], v[76:77], v[118:119], v[126:127]
	v_fma_f64 v[78:79], v[78:79], v[118:119], -v[128:129]
	v_fma_f64 v[108:109], v[72:73], v[118:119], v[130:131]
	v_fma_f64 v[110:111], v[74:75], v[118:119], -v[132:133]
	v_fma_f64 v[84:85], v[84:85], v[118:119], v[134:135]
	v_fma_f64 v[86:87], v[86:87], v[118:119], -v[136:137]
	v_fma_f64 v[112:113], v[80:81], v[118:119], v[138:139]
	v_fma_f64 v[114:115], v[82:83], v[118:119], -v[140:141]
	v_fma_f64 v[92:93], v[92:93], v[118:119], v[142:143]
	v_fma_f64 v[94:95], v[94:95], v[118:119], -v[144:145]
	v_fma_f64 v[122:123], v[88:89], v[118:119], v[146:147]
	v_fma_f64 v[124:125], v[90:91], v[118:119], -v[148:149]
	v_fma_f64 v[100:101], v[100:101], v[118:119], v[150:151]
	v_fma_f64 v[102:103], v[102:103], v[118:119], -v[152:153]
	v_fma_f64 v[126:127], v[96:97], v[118:119], v[154:155]
	v_fma_f64 v[128:129], v[98:99], v[118:119], -v[156:157]
	v_fma_f64 v[130:131], v[56:57], v[118:119], v[158:159]
	v_fma_f64 v[118:119], v[58:59], v[118:119], -v[120:121]
	v_add_f64 v[56:57], v[8:9], -v[60:61]
	v_add_f64 v[58:59], v[10:11], -v[62:63]
	;; [unrolled: 1-line block ×26, first 2 shown]
	v_fma_f64 v[8:9], v[8:9], 2.0, -v[56:57]
	v_fma_f64 v[10:11], v[10:11], 2.0, -v[58:59]
	;; [unrolled: 1-line block ×24, first 2 shown]
	ds_write_b128 v160, v[56:59] offset:64
	ds_write_b128 v160, v[8:11]
	ds_write_b128 v161, v[12:15]
	ds_write_b128 v161, v[60:63] offset:64
	ds_write_b128 v162, v[16:19]
	ds_write_b128 v162, v[64:67] offset:64
	;; [unrolled: 2-line block ×11, first 2 shown]
	s_and_saveexec_b32 s1, s0
	s_cbranch_execz .LBB0_31
; %bb.30:
	v_fma_f64 v[6:7], v[6:7], 2.0, -v[2:3]
	v_fma_f64 v[4:5], v[4:5], 2.0, -v[0:1]
	v_and_or_b32 v8, 0x578, v116, v117
	v_lshl_add_u32 v8, v8, 4, 0
	ds_write_b128 v8, v[4:7]
	ds_write_b128 v8, v[0:3] offset:64
.LBB0_31:
	s_or_b32 exec_lo, exec_lo, s1
	v_and_b32_e32 v176, 7, v186
	s_waitcnt lgkmcnt(0)
	s_barrier
	buffer_gl0_inv
	s_mov_b32 s8, 0x134454ff
	v_lshlrev_b32_e32 v16, 6, v176
	s_mov_b32 s9, 0xbfee6f0e
	s_mov_b32 s15, 0x3fee6f0e
	;; [unrolled: 1-line block ×4, first 2 shown]
	s_clause 0x3
	global_load_dwordx4 v[4:7], v16, s[12:13] offset:96
	global_load_dwordx4 v[8:11], v16, s[12:13] offset:112
	global_load_dwordx4 v[12:15], v16, s[12:13] offset:128
	global_load_dwordx4 v[16:19], v16, s[12:13] offset:144
	ds_read_b128 v[20:23], v192 offset:4480
	ds_read_b128 v[24:27], v192 offset:13440
	ds_read_b128 v[28:31], v192
	ds_read_b128 v[32:35], v192 offset:896
	ds_read_b128 v[36:39], v192 offset:8960
	;; [unrolled: 1-line block ×22, first 2 shown]
	s_mov_b32 s1, 0xbfe2cf23
	s_mov_b32 s5, 0x3fe2cf23
	;; [unrolled: 1-line block ×5, first 2 shown]
	s_waitcnt vmcnt(0) lgkmcnt(0)
	s_barrier
	buffer_gl0_inv
	v_mul_f64 v[100:101], v[22:23], v[6:7]
	v_mul_f64 v[102:103], v[20:21], v[6:7]
	;; [unrolled: 1-line block ×28, first 2 shown]
	v_fma_f64 v[152:153], v[20:21], v[4:5], v[100:101]
	v_fma_f64 v[154:155], v[22:23], v[4:5], -v[102:103]
	v_mul_f64 v[20:21], v[98:99], v[14:15]
	v_mul_f64 v[22:23], v[96:97], v[14:15]
	v_fma_f64 v[198:199], v[36:37], v[8:9], v[104:105]
	v_fma_f64 v[200:201], v[38:39], v[8:9], -v[110:111]
	v_mul_f64 v[36:37], v[82:83], v[18:19]
	v_fma_f64 v[202:203], v[24:25], v[12:13], v[112:113]
	v_fma_f64 v[204:205], v[26:27], v[12:13], -v[118:119]
	v_mul_f64 v[24:25], v[90:91], v[6:7]
	v_mul_f64 v[6:7], v[88:89], v[6:7]
	v_fma_f64 v[44:45], v[44:45], v[16:17], v[120:121]
	v_fma_f64 v[46:47], v[46:47], v[16:17], -v[122:123]
	v_mul_f64 v[26:27], v[94:95], v[10:11]
	;; [unrolled: 4-line block ×3, first 2 shown]
	v_mul_f64 v[14:15], v[106:107], v[14:15]
	v_fma_f64 v[206:207], v[40:41], v[8:9], v[128:129]
	v_fma_f64 v[208:209], v[42:43], v[8:9], -v[130:131]
	v_fma_f64 v[210:211], v[60:61], v[12:13], v[132:133]
	v_fma_f64 v[212:213], v[62:63], v[12:13], -v[134:135]
	;; [unrolled: 2-line block ×3, first 2 shown]
	v_mul_f64 v[38:39], v[80:81], v[18:19]
	v_mul_f64 v[40:41], v[116:117], v[18:19]
	;; [unrolled: 1-line block ×3, first 2 shown]
	v_fma_f64 v[112:113], v[56:57], v[4:5], v[156:157]
	v_fma_f64 v[118:119], v[58:59], v[4:5], -v[158:159]
	v_fma_f64 v[168:169], v[68:69], v[8:9], v[160:161]
	v_fma_f64 v[164:165], v[70:71], v[8:9], -v[162:163]
	;; [unrolled: 2-line block ×5, first 2 shown]
	v_fma_f64 v[134:135], v[72:73], v[8:9], v[190:191]
	v_fma_f64 v[70:71], v[96:97], v[12:13], v[20:21]
	v_fma_f64 v[72:73], v[98:99], v[12:13], -v[22:23]
	v_fma_f64 v[56:57], v[80:81], v[16:17], v[36:37]
	v_fma_f64 v[124:125], v[88:89], v[4:5], v[24:25]
	v_fma_f64 v[126:127], v[90:91], v[4:5], -v[6:7]
	v_fma_f64 v[136:137], v[92:93], v[8:9], v[26:27]
	v_fma_f64 v[132:133], v[94:95], v[8:9], -v[10:11]
	;; [unrolled: 2-line block ×3, first 2 shown]
	v_add_f64 v[4:5], v[198:199], v[202:203]
	v_add_f64 v[10:11], v[152:153], v[44:45]
	;; [unrolled: 1-line block ×8, first 2 shown]
	v_fma_f64 v[130:131], v[74:75], v[8:9], -v[196:197]
	v_fma_f64 v[58:59], v[82:83], v[16:17], -v[38:39]
	v_fma_f64 v[60:61], v[114:115], v[16:17], v[40:41]
	v_fma_f64 v[62:63], v[116:117], v[16:17], -v[18:19]
	v_add_f64 v[88:89], v[28:29], v[152:153]
	v_add_f64 v[150:151], v[30:31], v[154:155]
	;; [unrolled: 1-line block ×4, first 2 shown]
	v_add_f64 v[6:7], v[152:153], -v[198:199]
	v_add_f64 v[8:9], v[44:45], -v[202:203]
	;; [unrolled: 1-line block ×4, first 2 shown]
	v_add_f64 v[66:67], v[120:121], v[56:57]
	v_add_f64 v[36:37], v[168:169], v[170:171]
	v_fma_f64 v[128:129], v[4:5], -0.5, v[28:29]
	v_fma_f64 v[116:117], v[10:11], -0.5, v[28:29]
	;; [unrolled: 1-line block ×4, first 2 shown]
	v_add_f64 v[4:5], v[132:133], v[78:79]
	v_fma_f64 v[108:109], v[20:21], -0.5, v[32:33]
	v_fma_f64 v[106:107], v[22:23], -0.5, v[32:33]
	;; [unrolled: 1-line block ×4, first 2 shown]
	v_add_f64 v[20:21], v[104:105], -v[208:209]
	v_add_f64 v[22:23], v[208:209], -v[104:105]
	v_add_f64 v[24:25], v[50:51], -v[212:213]
	v_add_f64 v[26:27], v[212:213], -v[50:51]
	v_add_f64 v[28:29], v[112:113], -v[168:169]
	v_add_f64 v[30:31], v[52:53], -v[170:171]
	v_add_f64 v[32:33], v[168:169], -v[112:113]
	v_add_f64 v[34:35], v[170:171], -v[52:53]
	v_add_f64 v[38:39], v[112:113], v[52:53]
	v_add_f64 v[40:41], v[164:165], v[166:167]
	;; [unrolled: 1-line block ×3, first 2 shown]
	v_fma_f64 v[84:85], v[66:67], -0.5, v[146:147]
	v_fma_f64 v[96:97], v[36:37], -0.5, v[142:143]
	v_add_f64 v[36:37], v[118:119], -v[164:165]
	v_add_f64 v[68:69], v[130:131], v[72:73]
	v_add_f64 v[74:75], v[122:123], v[58:59]
	;; [unrolled: 1-line block ×3, first 2 shown]
	v_fma_f64 v[66:67], v[4:5], -0.5, v[140:141]
	v_add_f64 v[4:5], v[6:7], v[8:9]
	v_add_f64 v[6:7], v[16:17], v[18:19]
	;; [unrolled: 1-line block ×8, first 2 shown]
	v_add_f64 v[24:25], v[54:55], -v[166:167]
	v_add_f64 v[20:21], v[28:29], v[30:31]
	v_add_f64 v[28:29], v[120:121], -v[134:135]
	v_add_f64 v[22:23], v[32:33], v[34:35]
	v_add_f64 v[30:31], v[134:135], -v[120:121]
	v_add_f64 v[32:33], v[56:57], -v[70:71]
	;; [unrolled: 1-line block ×3, first 2 shown]
	v_fma_f64 v[94:95], v[38:39], -0.5, v[142:143]
	v_add_f64 v[38:39], v[164:165], -v[118:119]
	v_add_f64 v[26:27], v[166:167], -v[54:55]
	v_fma_f64 v[92:93], v[40:41], -0.5, v[144:145]
	v_add_f64 v[40:41], v[76:77], -v[60:61]
	v_fma_f64 v[90:91], v[42:43], -0.5, v[144:145]
	;; [unrolled: 2-line block ×3, first 2 shown]
	v_fma_f64 v[80:81], v[74:75], -0.5, v[148:149]
	v_fma_f64 v[74:75], v[162:163], -0.5, v[138:139]
	;; [unrolled: 1-line block ×3, first 2 shown]
	v_add_f64 v[138:139], v[78:79], -v[62:63]
	v_add_f64 v[177:178], v[142:143], v[112:113]
	v_add_f64 v[179:180], v[144:145], v[118:119]
	;; [unrolled: 1-line block ×4, first 2 shown]
	v_add_f64 v[36:37], v[72:73], -v[58:59]
	v_add_f64 v[158:159], v[148:149], v[122:123]
	v_add_f64 v[162:163], v[140:141], v[126:127]
	;; [unrolled: 1-line block ×4, first 2 shown]
	v_add_f64 v[32:33], v[122:123], -v[130:131]
	v_add_f64 v[30:31], v[30:31], v[34:35]
	v_add_f64 v[34:35], v[58:59], -v[72:73]
	v_add_f64 v[26:27], v[38:39], v[26:27]
	v_add_f64 v[38:39], v[60:61], -v[76:77]
	v_fma_f64 v[86:87], v[64:65], -0.5, v[146:147]
	v_add_f64 v[146:147], v[88:89], v[202:203]
	v_add_f64 v[88:89], v[150:151], v[200:201]
	;; [unrolled: 1-line block ×3, first 2 shown]
	v_add_f64 v[181:182], v[154:155], -v[200:201]
	v_add_f64 v[196:197], v[200:201], -v[154:155]
	v_add_f64 v[160:161], v[160:161], v[136:137]
	v_add_f64 v[154:155], v[154:155], -v[46:47]
	v_add_f64 v[174:175], v[177:178], v[168:169]
	v_add_f64 v[142:143], v[200:201], -v[204:205]
	v_add_f64 v[156:157], v[156:157], v[134:135]
	v_add_f64 v[152:153], v[152:153], -v[44:45]
	v_add_f64 v[104:105], v[104:105], -v[50:51]
	v_add_f64 v[158:159], v[158:159], v[130:131]
	v_add_f64 v[162:163], v[162:163], v[132:133]
	v_fma_f64 v[64:65], v[10:11], -0.5, v[140:141]
	v_add_f64 v[140:141], v[198:199], -v[202:203]
	v_add_f64 v[216:217], v[100:101], -v[206:207]
	;; [unrolled: 1-line block ×3, first 2 shown]
	v_add_f64 v[32:33], v[32:33], v[34:35]
	v_add_f64 v[34:35], v[130:131], -v[122:123]
	v_add_f64 v[100:101], v[100:101], -v[48:49]
	;; [unrolled: 1-line block ×4, first 2 shown]
	v_add_f64 v[150:151], v[88:89], v[204:205]
	v_add_f64 v[88:89], v[206:207], -v[210:211]
	v_add_f64 v[148:149], v[148:149], v[212:213]
	v_add_f64 v[112:113], v[112:113], -v[52:53]
	v_add_f64 v[134:135], v[134:135], -v[70:71]
	;; [unrolled: 1-line block ×3, first 2 shown]
	v_add_f64 v[170:171], v[174:175], v[170:171]
	v_add_f64 v[120:121], v[120:121], -v[56:57]
	v_add_f64 v[70:71], v[156:157], v[70:71]
	v_add_f64 v[122:123], v[122:123], -v[58:59]
	v_fma_f64 v[156:157], v[154:155], s[8:9], v[128:129]
	v_add_f64 v[72:73], v[158:159], v[72:73]
	v_fma_f64 v[128:129], v[154:155], s[14:15], v[128:129]
	v_fma_f64 v[158:159], v[142:143], s[14:15], v[116:117]
	;; [unrolled: 1-line block ×3, first 2 shown]
	v_add_f64 v[44:45], v[146:147], v[44:45]
	v_fma_f64 v[146:147], v[104:105], s[8:9], v[108:109]
	v_fma_f64 v[108:109], v[104:105], s[14:15], v[108:109]
	v_add_f64 v[34:35], v[34:35], v[36:37]
	v_add_f64 v[36:37], v[124:125], -v[136:137]
	v_add_f64 v[190:191], v[46:47], -v[204:205]
	v_add_f64 v[214:215], v[204:205], -v[46:47]
	v_add_f64 v[46:47], v[150:151], v[46:47]
	v_add_f64 v[218:219], v[48:49], -v[210:211]
	v_add_f64 v[222:223], v[210:211], -v[48:49]
	v_add_f64 v[50:51], v[148:149], v[50:51]
	v_fma_f64 v[148:149], v[88:89], s[8:9], v[98:99]
	v_fma_f64 v[98:99], v[88:89], s[14:15], v[98:99]
	v_add_f64 v[52:53], v[170:171], v[52:53]
	v_lshrrev_b32_e32 v174, 3, v195
	v_add_f64 v[56:57], v[70:71], v[56:57]
	v_fma_f64 v[70:71], v[112:113], s[14:15], v[92:93]
	v_fma_f64 v[156:157], v[142:143], s[0:1], v[156:157]
	v_add_f64 v[58:59], v[72:73], v[58:59]
	v_fma_f64 v[72:73], v[112:113], s[8:9], v[92:93]
	v_fma_f64 v[92:93], v[168:169], s[8:9], v[90:91]
	;; [unrolled: 1-line block ×7, first 2 shown]
	v_add_f64 v[36:37], v[36:37], v[38:39]
	v_add_f64 v[38:39], v[136:137], -v[124:125]
	v_add_f64 v[136:137], v[136:137], -v[76:77]
	v_add_f64 v[76:77], v[160:161], v[76:77]
	v_add_f64 v[124:125], v[124:125], -v[60:61]
	v_fma_f64 v[160:161], v[152:153], s[14:15], v[114:115]
	v_fma_f64 v[114:115], v[152:153], s[8:9], v[114:115]
	;; [unrolled: 1-line block ×5, first 2 shown]
	v_add_f64 v[8:9], v[181:182], v[190:191]
	v_lshrrev_b32_e32 v175, 3, v194
	v_add_f64 v[10:11], v[196:197], v[214:215]
	v_lshrrev_b32_e32 v177, 3, v186
	v_add_f64 v[12:13], v[216:217], v[218:219]
	v_mul_u32_u24_e32 v174, 40, v174
	v_mul_u32_u24_e32 v175, 40, v175
	v_add_f64 v[14:15], v[220:221], v[222:223]
	v_mul_u32_u24_e32 v177, 40, v177
	v_fma_f64 v[148:149], v[100:101], s[4:5], v[148:149]
	v_fma_f64 v[98:99], v[100:101], s[0:1], v[98:99]
	v_or_b32_e32 v174, v174, v176
	v_or_b32_e32 v175, v175, v176
	v_add_f64 v[38:39], v[38:39], v[40:41]
	v_add_f64 v[40:41], v[126:127], -v[132:133]
	v_add_f64 v[60:61], v[76:77], v[60:61]
	v_fma_f64 v[76:77], v[122:123], s[8:9], v[86:87]
	v_fma_f64 v[160:161], v[140:141], s[4:5], v[160:161]
	;; [unrolled: 1-line block ×3, first 2 shown]
	v_or_b32_e32 v177, v177, v176
	v_lshl_add_u32 v181, v174, 4, 0
	v_lshl_add_u32 v182, v175, 4, 0
	v_fma_f64 v[142:143], v[134:135], s[4:5], v[142:143]
	v_fma_f64 v[154:155], v[120:121], s[4:5], v[154:155]
	;; [unrolled: 1-line block ×4, first 2 shown]
	v_add_f64 v[40:41], v[40:41], v[42:43]
	v_add_f64 v[42:43], v[132:133], -v[126:127]
	v_add_f64 v[132:133], v[132:133], -v[78:79]
	v_add_f64 v[78:79], v[162:163], v[78:79]
	v_add_f64 v[126:127], v[126:127], -v[62:63]
	v_fma_f64 v[162:163], v[140:141], s[8:9], v[110:111]
	v_fma_f64 v[110:111], v[140:141], s[14:15], v[110:111]
	;; [unrolled: 1-line block ×4, first 2 shown]
	v_add_f64 v[42:43], v[42:43], v[138:139]
	v_add_f64 v[138:139], v[172:173], v[206:207]
	;; [unrolled: 1-line block ×3, first 2 shown]
	v_add_f64 v[164:165], v[164:165], -v[166:167]
	v_add_f64 v[62:63], v[78:79], v[62:63]
	v_fma_f64 v[78:79], v[122:123], s[14:15], v[86:87]
	v_fma_f64 v[86:87], v[130:131], s[14:15], v[84:85]
	;; [unrolled: 1-line block ×9, first 2 shown]
	v_lshl_add_u32 v180, v177, 4, 0
	v_add_f64 v[144:145], v[138:139], v[210:211]
	v_add_f64 v[138:139], v[208:209], -v[212:213]
	v_add_f64 v[166:167], v[172:173], v[166:167]
	v_fma_f64 v[170:171], v[164:165], s[14:15], v[94:95]
	v_fma_f64 v[94:95], v[164:165], s[8:9], v[94:95]
	v_lshrrev_b32_e32 v172, 3, v193
	v_lshrrev_b32_e32 v173, 3, v187
	v_fma_f64 v[130:131], v[130:131], s[4:5], v[78:79]
	v_fma_f64 v[140:141], v[132:133], s[0:1], v[140:141]
	;; [unrolled: 1-line block ×3, first 2 shown]
	v_mul_u32_u24_e32 v172, 40, v172
	v_mul_u32_u24_e32 v173, 40, v173
	v_fma_f64 v[152:153], v[126:127], s[0:1], v[152:153]
	v_fma_f64 v[126:127], v[126:127], s[4:5], v[68:69]
	;; [unrolled: 1-line block ×3, first 2 shown]
	v_or_b32_e32 v172, v172, v176
	v_or_b32_e32 v173, v173, v176
	v_fma_f64 v[176:177], v[122:123], s[0:1], v[86:87]
	v_fma_f64 v[122:123], v[122:123], s[4:5], v[84:85]
	;; [unrolled: 1-line block ×3, first 2 shown]
	v_lshl_add_u32 v183, v172, 4, 0
	v_lshl_add_u32 v190, v173, 4, 0
	v_add_f64 v[48:49], v[144:145], v[48:49]
	v_fma_f64 v[150:151], v[138:139], s[14:15], v[106:107]
	v_fma_f64 v[106:107], v[138:139], s[8:9], v[106:107]
	;; [unrolled: 1-line block ×4, first 2 shown]
	v_add_f64 v[54:55], v[166:167], v[54:55]
	v_fma_f64 v[166:167], v[118:119], s[8:9], v[96:97]
	v_fma_f64 v[96:97], v[118:119], s[14:15], v[96:97]
	;; [unrolled: 1-line block ×61, first 2 shown]
	ds_write_b128 v180, v[44:47]
	ds_write_b128 v180, v[64:67] offset:128
	ds_write_b128 v180, v[72:75] offset:256
	ds_write_b128 v180, v[76:79] offset:384
	ds_write_b128 v180, v[68:71] offset:512
	ds_write_b128 v181, v[48:51]
	ds_write_b128 v181, v[80:83] offset:128
	ds_write_b128 v181, v[88:91] offset:256
	ds_write_b128 v181, v[92:95] offset:384
	ds_write_b128 v181, v[84:87] offset:512
	;; [unrolled: 5-line block ×5, first 2 shown]
	s_waitcnt lgkmcnt(0)
	s_barrier
	buffer_gl0_inv
	ds_read_b128 v[36:39], v192
	ds_read_b128 v[32:35], v192 offset:896
	ds_read_b128 v[84:87], v192 offset:6400
	;; [unrolled: 1-line block ×20, first 2 shown]
	v_cmp_gt_u32_e64 s0, 32, v186
                                        ; implicit-def: $vgpr26_vgpr27
                                        ; implicit-def: $vgpr22_vgpr23
	s_and_saveexec_b32 s1, s0
	s_cbranch_execz .LBB0_33
; %bb.32:
	ds_read_b128 v[4:7], v192 offset:2688
	ds_read_b128 v[8:11], v192 offset:5888
	;; [unrolled: 1-line block ×7, first 2 shown]
.LBB0_33:
	s_or_b32 exec_lo, exec_lo, s1
	v_subrev_nc_u32_e32 v112, 40, v186
	v_and_b32_e32 v113, 0xff, v195
	v_cmp_gt_u32_e64 s1, 40, v186
	v_and_b32_e32 v114, 0xff, v194
	v_mov_b32_e32 v191, 0
	v_mov_b32_e32 v116, 6
	;; [unrolled: 1-line block ×3, first 2 shown]
	v_cndmask_b32_e64 v196, v112, v186, s1
	v_mul_lo_u16 v112, 0xcd, v113
	v_mul_lo_u16 v114, 0xcd, v114
	v_mov_b32_e32 v201, 4
	s_mov_b32 s14, 0x37e14327
	v_mul_i32_i24_e32 v190, 6, v196
	v_lshrrev_b16 v199, 13, v112
	v_lshrrev_b16 v197, 13, v114
	v_lshlrev_b32_e32 v196, 4, v196
	s_mov_b32 s6, 0x36b3c0b5
	v_lshlrev_b64 v[112:113], 4, v[190:191]
	v_mul_lo_u16 v115, v199, 40
	v_mul_u32_u24_sdwa v199, v199, v200 dst_sel:DWORD dst_unused:UNUSED_PAD src0_sel:WORD_0 src1_sel:DWORD
	s_mov_b32 s18, 0xe976ee23
	s_mov_b32 s4, 0x429ad128
	;; [unrolled: 1-line block ×3, first 2 shown]
	v_sub_nc_u16 v190, v195, v115
	v_add_co_u32 v112, s1, s12, v112
	v_add_co_ci_u32_e64 v113, s1, s13, v113, s1
	v_mul_u32_u24_sdwa v114, v190, v116 dst_sel:DWORD dst_unused:UNUSED_PAD src0_sel:BYTE_0 src1_sel:DWORD
	v_mul_lo_u16 v115, v197, 40
	s_clause 0x3
	global_load_dwordx4 v[156:159], v[112:113], off offset:608
	global_load_dwordx4 v[140:143], v[112:113], off offset:624
	;; [unrolled: 1-line block ×4, first 2 shown]
	v_lshlrev_b32_e32 v114, 4, v114
	global_load_dwordx4 v[148:151], v[112:113], off offset:672
	v_sub_nc_u16 v198, v194, v115
	s_clause 0x2
	global_load_dwordx4 v[144:147], v[112:113], off offset:688
	global_load_dwordx4 v[132:135], v114, s[12:13] offset:608
	global_load_dwordx4 v[128:131], v114, s[12:13] offset:624
	v_cmp_lt_u32_e64 s1, 39, v186
	v_mul_u32_u24_sdwa v197, v197, v200 dst_sel:DWORD dst_unused:UNUSED_PAD src0_sel:WORD_0 src1_sel:DWORD
	v_mul_u32_u24_sdwa v112, v198, v116 dst_sel:DWORD dst_unused:UNUSED_PAD src0_sel:BYTE_0 src1_sel:DWORD
	s_clause 0x1
	global_load_dwordx4 v[124:127], v114, s[12:13] offset:640
	global_load_dwordx4 v[116:119], v114, s[12:13] offset:656
	v_lshlrev_b32_sdwa v190, v201, v190 dst_sel:DWORD dst_unused:UNUSED_PAD src0_sel:DWORD src1_sel:BYTE_0
	v_cndmask_b32_e64 v202, 0, 0x1180, s1
	v_lshlrev_b32_sdwa v198, v201, v198 dst_sel:DWORD dst_unused:UNUSED_PAD src0_sel:DWORD src1_sel:BYTE_0
	v_lshlrev_b32_e32 v176, 4, v112
	s_clause 0x7
	global_load_dwordx4 v[120:123], v114, s[12:13] offset:672
	global_load_dwordx4 v[112:115], v114, s[12:13] offset:688
	;; [unrolled: 1-line block ×8, first 2 shown]
	v_add3_u32 v232, 0, v202, v196
	v_add3_u32 v190, 0, v199, v190
	;; [unrolled: 1-line block ×3, first 2 shown]
	s_mov_b32 s7, 0x3fac98ee
	s_mov_b32 s19, 0x3fe11646
	;; [unrolled: 1-line block ×15, first 2 shown]
	s_waitcnt vmcnt(0) lgkmcnt(0)
	s_barrier
	buffer_gl0_inv
	v_mul_f64 v[196:197], v[102:103], v[158:159]
	v_mul_f64 v[158:159], v[100:101], v[158:159]
	;; [unrolled: 1-line block ×36, first 2 shown]
	v_fma_f64 v[100:101], v[100:101], v[156:157], v[196:197]
	v_fma_f64 v[102:103], v[102:103], v[156:157], -v[158:159]
	v_fma_f64 v[84:85], v[84:85], v[140:141], v[198:199]
	v_fma_f64 v[86:87], v[86:87], v[140:141], -v[142:143]
	;; [unrolled: 2-line block ×18, first 2 shown]
	v_add_f64 v[112:113], v[100:101], v[76:77]
	v_add_f64 v[114:115], v[102:103], v[78:79]
	v_add_f64 v[76:77], v[100:101], -v[76:77]
	v_add_f64 v[78:79], v[102:103], -v[78:79]
	v_add_f64 v[100:101], v[84:85], v[108:109]
	v_add_f64 v[102:103], v[86:87], v[110:111]
	v_add_f64 v[84:85], v[84:85], -v[108:109]
	v_add_f64 v[86:87], v[86:87], -v[110:111]
	;; [unrolled: 4-line block ×10, first 2 shown]
	v_add_f64 v[112:113], v[112:113], -v[108:109]
	v_add_f64 v[114:115], v[114:115], -v[110:111]
	;; [unrolled: 1-line block ×4, first 2 shown]
	v_add_f64 v[120:121], v[80:81], v[84:85]
	v_add_f64 v[122:123], v[82:83], v[86:87]
	v_add_f64 v[124:125], v[80:81], -v[84:85]
	v_add_f64 v[126:127], v[82:83], -v[86:87]
	;; [unrolled: 1-line block ×4, first 2 shown]
	v_add_f64 v[128:129], v[88:89], v[104:105]
	v_add_f64 v[130:131], v[90:91], v[106:107]
	;; [unrolled: 1-line block ×4, first 2 shown]
	v_add_f64 v[140:141], v[44:45], -v[52:53]
	v_add_f64 v[142:143], v[46:47], -v[54:55]
	v_add_f64 v[144:145], v[56:57], v[92:93]
	v_add_f64 v[146:147], v[58:59], v[94:95]
	;; [unrolled: 1-line block ×4, first 2 shown]
	v_add_f64 v[80:81], v[76:77], -v[80:81]
	v_add_f64 v[82:83], v[78:79], -v[82:83]
	;; [unrolled: 1-line block ×8, first 2 shown]
	v_add_f64 v[76:77], v[120:121], v[76:77]
	v_add_f64 v[78:79], v[122:123], v[78:79]
	v_mul_f64 v[108:109], v[112:113], s[14:15]
	v_mul_f64 v[110:111], v[114:115], s[14:15]
	;; [unrolled: 1-line block ×8, first 2 shown]
	v_add_f64 v[96:97], v[96:97], v[128:129]
	v_add_f64 v[98:99], v[98:99], v[130:131]
	v_add_f64 v[52:53], v[52:53], -v[40:41]
	v_add_f64 v[54:55], v[54:55], -v[42:43]
	;; [unrolled: 1-line block ×10, first 2 shown]
	v_add_f64 v[152:153], v[64:65], v[60:61]
	v_add_f64 v[154:155], v[66:67], v[62:63]
	v_add_f64 v[156:157], v[64:65], -v[60:61]
	v_add_f64 v[158:159], v[66:67], -v[62:63]
	v_add_f64 v[40:41], v[136:137], v[40:41]
	v_add_f64 v[42:43], v[138:139], v[42:43]
	v_mul_f64 v[136:137], v[140:141], s[18:19]
	v_mul_f64 v[138:139], v[142:143], s[18:19]
	v_add_f64 v[72:73], v[72:73], v[144:145]
	v_add_f64 v[74:75], v[74:75], v[146:147]
	v_add_f64 v[60:61], v[60:61], -v[48:49]
	v_add_f64 v[62:63], v[62:63], -v[50:51]
	v_add_f64 v[36:37], v[36:37], v[68:69]
	v_add_f64 v[38:39], v[38:39], v[70:71]
	v_mul_f64 v[104:105], v[104:105], s[14:15]
	v_mul_f64 v[106:107], v[106:107], s[14:15]
	v_fma_f64 v[100:101], v[100:101], s[6:7], v[108:109]
	v_fma_f64 v[102:103], v[102:103], s[6:7], v[110:111]
	v_fma_f64 v[112:113], v[116:117], s[16:17], -v[112:113]
	v_fma_f64 v[114:115], v[118:119], s[16:17], -v[114:115]
	;; [unrolled: 1-line block ×4, first 2 shown]
	v_fma_f64 v[116:117], v[80:81], s[22:23], v[120:121]
	v_fma_f64 v[118:119], v[82:83], s[22:23], v[122:123]
	v_fma_f64 v[84:85], v[84:85], s[4:5], -v[120:121]
	v_fma_f64 v[86:87], v[86:87], s[4:5], -v[122:123]
	;; [unrolled: 1-line block ×4, first 2 shown]
	v_add_f64 v[32:33], v[32:33], v[96:97]
	v_add_f64 v[34:35], v[34:35], v[98:99]
	v_mul_f64 v[128:129], v[88:89], s[6:7]
	v_mul_f64 v[130:131], v[90:91], s[6:7]
	;; [unrolled: 1-line block ×4, first 2 shown]
	v_add_f64 v[64:65], v[48:49], -v[64:65]
	v_add_f64 v[66:67], v[50:51], -v[66:67]
	v_add_f64 v[48:49], v[152:153], v[48:49]
	v_add_f64 v[50:51], v[154:155], v[50:51]
	v_mul_f64 v[92:93], v[92:93], s[14:15]
	v_mul_f64 v[94:95], v[94:95], s[14:15]
	;; [unrolled: 1-line block ×4, first 2 shown]
	v_fma_f64 v[124:125], v[44:45], s[22:23], v[136:137]
	v_fma_f64 v[126:127], v[46:47], s[22:23], v[138:139]
	v_fma_f64 v[52:53], v[52:53], s[4:5], -v[136:137]
	v_fma_f64 v[54:55], v[54:55], s[4:5], -v[138:139]
	v_add_f64 v[28:29], v[28:29], v[72:73]
	v_add_f64 v[30:31], v[30:31], v[74:75]
	v_mul_f64 v[144:145], v[56:57], s[6:7]
	v_mul_f64 v[146:147], v[58:59], s[6:7]
	;; [unrolled: 1-line block ×4, first 2 shown]
	v_fma_f64 v[68:69], v[68:69], s[8:9], v[36:37]
	v_fma_f64 v[70:71], v[70:71], s[8:9], v[38:39]
	v_fma_f64 v[88:89], v[88:89], s[6:7], v[104:105]
	v_fma_f64 v[90:91], v[90:91], s[6:7], v[106:107]
	v_fma_f64 v[116:117], v[76:77], s[24:25], v[116:117]
	v_fma_f64 v[118:119], v[78:79], s[24:25], v[118:119]
	v_fma_f64 v[84:85], v[76:77], s[24:25], v[84:85]
	v_fma_f64 v[86:87], v[78:79], s[24:25], v[86:87]
	v_fma_f64 v[76:77], v[76:77], s[24:25], v[80:81]
	v_fma_f64 v[78:79], v[78:79], s[24:25], v[82:83]
	v_fma_f64 v[80:81], v[96:97], s[8:9], v[32:33]
	v_fma_f64 v[82:83], v[98:99], s[8:9], v[34:35]
	v_fma_f64 v[120:121], v[132:133], s[16:17], -v[128:129]
	v_fma_f64 v[122:123], v[134:135], s[16:17], -v[130:131]
	;; [unrolled: 1-line block ×6, first 2 shown]
	v_fma_f64 v[56:57], v[56:57], s[6:7], v[92:93]
	v_fma_f64 v[58:59], v[58:59], s[6:7], v[94:95]
	v_fma_f64 v[132:133], v[64:65], s[22:23], v[152:153]
	v_fma_f64 v[134:135], v[66:67], s[22:23], v[154:155]
	v_fma_f64 v[96:97], v[40:41], s[24:25], v[124:125]
	v_fma_f64 v[98:99], v[42:43], s[24:25], v[126:127]
	v_fma_f64 v[124:125], v[40:41], s[24:25], v[52:53]
	v_fma_f64 v[126:127], v[42:43], s[24:25], v[54:55]
	v_fma_f64 v[52:53], v[72:73], s[8:9], v[28:29]
	v_fma_f64 v[54:55], v[74:75], s[8:9], v[30:31]
	v_fma_f64 v[128:129], v[148:149], s[16:17], -v[144:145]
	v_fma_f64 v[130:131], v[150:151], s[16:17], -v[146:147]
	;; [unrolled: 1-line block ×8, first 2 shown]
	v_add_f64 v[72:73], v[100:101], v[68:69]
	v_add_f64 v[74:75], v[102:103], v[70:71]
	;; [unrolled: 1-line block ×8, first 2 shown]
	v_fma_f64 v[136:137], v[40:41], s[24:25], v[44:45]
	v_fma_f64 v[138:139], v[42:43], s[24:25], v[46:47]
	v_add_f64 v[120:121], v[120:121], v[80:81]
	v_add_f64 v[122:123], v[122:123], v[82:83]
	;; [unrolled: 1-line block ×4, first 2 shown]
	v_fma_f64 v[132:133], v[48:49], s[24:25], v[132:133]
	v_fma_f64 v[134:135], v[50:51], s[24:25], v[134:135]
	v_add_f64 v[140:141], v[56:57], v[52:53]
	v_add_f64 v[142:143], v[58:59], v[54:55]
	v_fma_f64 v[112:113], v[48:49], s[24:25], v[64:65]
	v_fma_f64 v[114:115], v[50:51], s[24:25], v[66:67]
	v_add_f64 v[104:105], v[128:129], v[52:53]
	v_add_f64 v[106:107], v[130:131], v[54:55]
	;; [unrolled: 1-line block ×4, first 2 shown]
	v_fma_f64 v[108:109], v[48:49], s[24:25], v[60:61]
	v_fma_f64 v[110:111], v[50:51], s[24:25], v[62:63]
	v_add_f64 v[40:41], v[118:119], v[72:73]
	v_add_f64 v[42:43], v[74:75], -v[116:117]
	v_add_f64 v[44:45], v[78:79], v[100:101]
	v_add_f64 v[46:47], v[102:103], -v[76:77]
	v_add_f64 v[48:49], v[68:69], -v[86:87]
	v_add_f64 v[50:51], v[84:85], v[70:71]
	v_add_f64 v[52:53], v[86:87], v[68:69]
	v_add_f64 v[54:55], v[70:71], -v[84:85]
	v_add_f64 v[56:57], v[100:101], -v[78:79]
	v_add_f64 v[58:59], v[76:77], v[102:103]
	v_add_f64 v[60:61], v[72:73], -v[118:119]
	v_add_f64 v[62:63], v[116:117], v[74:75]
	v_add_f64 v[64:65], v[98:99], v[88:89]
	v_add_f64 v[66:67], v[90:91], -v[96:97]
	v_add_f64 v[68:69], v[138:139], v[80:81]
	v_add_f64 v[70:71], v[82:83], -v[136:137]
	v_add_f64 v[72:73], v[120:121], -v[126:127]
	v_add_f64 v[74:75], v[124:125], v[122:123]
	v_add_f64 v[76:77], v[126:127], v[120:121]
	v_add_f64 v[78:79], v[122:123], -v[124:125]
	v_add_f64 v[80:81], v[80:81], -v[138:139]
	v_add_f64 v[82:83], v[136:137], v[82:83]
	v_add_f64 v[84:85], v[88:89], -v[98:99]
	v_add_f64 v[86:87], v[96:97], v[90:91]
	v_add_f64 v[88:89], v[134:135], v[140:141]
	v_add_f64 v[90:91], v[142:143], -v[132:133]
	v_add_f64 v[92:93], v[114:115], v[128:129]
	v_add_f64 v[94:95], v[130:131], -v[112:113]
	v_add_f64 v[96:97], v[104:105], -v[110:111]
	v_add_f64 v[98:99], v[108:109], v[106:107]
	v_add_f64 v[100:101], v[110:111], v[104:105]
	v_add_f64 v[102:103], v[106:107], -v[108:109]
	v_add_f64 v[104:105], v[128:129], -v[114:115]
	v_add_f64 v[106:107], v[112:113], v[130:131]
	v_add_f64 v[108:109], v[140:141], -v[134:135]
	v_add_f64 v[110:111], v[132:133], v[142:143]
	ds_write_b128 v232, v[36:39]
	ds_write_b128 v232, v[40:43] offset:640
	ds_write_b128 v232, v[44:47] offset:1280
	ds_write_b128 v232, v[48:51] offset:1920
	ds_write_b128 v232, v[52:55] offset:2560
	ds_write_b128 v232, v[56:59] offset:3200
	ds_write_b128 v232, v[60:63] offset:3840
	ds_write_b128 v190, v[32:35]
	ds_write_b128 v190, v[64:67] offset:640
	ds_write_b128 v190, v[68:71] offset:1280
	ds_write_b128 v190, v[72:75] offset:1920
	ds_write_b128 v190, v[76:79] offset:2560
	ds_write_b128 v190, v[80:83] offset:3200
	ds_write_b128 v190, v[84:87] offset:3840
	ds_write_b128 v233, v[28:31]
	ds_write_b128 v233, v[88:91] offset:640
	ds_write_b128 v233, v[92:95] offset:1280
	ds_write_b128 v233, v[96:99] offset:1920
	ds_write_b128 v233, v[100:103] offset:2560
	ds_write_b128 v233, v[104:107] offset:3200
	ds_write_b128 v233, v[108:111] offset:3840
	s_and_saveexec_b32 s1, s0
	s_cbranch_execz .LBB0_35
; %bb.34:
	v_and_b32_e32 v28, 0xff, v193
	v_mul_lo_u16 v28, 0xcd, v28
	v_lshrrev_b16 v28, 13, v28
	v_mul_lo_u16 v28, v28, 40
	v_sub_nc_u16 v28, v193, v28
	v_and_b32_e32 v64, 0xff, v28
	v_mul_u32_u24_e32 v28, 6, v64
	v_lshlrev_b32_e32 v48, 4, v28
	s_clause 0x5
	global_load_dwordx4 v[28:31], v48, s[12:13] offset:624
	global_load_dwordx4 v[32:35], v48, s[12:13] offset:672
	;; [unrolled: 1-line block ×6, first 2 shown]
	s_waitcnt vmcnt(5)
	v_mul_f64 v[52:53], v[12:13], v[30:31]
	s_waitcnt vmcnt(4)
	v_mul_f64 v[54:55], v[20:21], v[34:35]
	;; [unrolled: 2-line block ×4, first 2 shown]
	v_mul_f64 v[30:31], v[14:15], v[30:31]
	v_mul_f64 v[34:35], v[22:23], v[34:35]
	;; [unrolled: 1-line block ×4, first 2 shown]
	s_waitcnt vmcnt(1)
	v_mul_f64 v[60:61], v[2:3], v[46:47]
	s_waitcnt vmcnt(0)
	v_mul_f64 v[62:63], v[18:19], v[50:51]
	v_mul_f64 v[50:51], v[16:17], v[50:51]
	;; [unrolled: 1-line block ×3, first 2 shown]
	v_fma_f64 v[14:15], v[14:15], v[28:29], -v[52:53]
	v_fma_f64 v[22:23], v[22:23], v[32:33], -v[54:55]
	;; [unrolled: 1-line block ×4, first 2 shown]
	v_fma_f64 v[12:13], v[12:13], v[28:29], v[30:31]
	v_fma_f64 v[20:21], v[20:21], v[32:33], v[34:35]
	;; [unrolled: 1-line block ×6, first 2 shown]
	v_fma_f64 v[18:19], v[18:19], v[48:49], -v[50:51]
	v_fma_f64 v[2:3], v[2:3], v[44:45], -v[46:47]
	v_add_f64 v[28:29], v[14:15], v[22:23]
	v_add_f64 v[14:15], v[14:15], -v[22:23]
	v_add_f64 v[30:31], v[10:11], v[26:27]
	v_add_f64 v[10:11], v[10:11], -v[26:27]
	;; [unrolled: 2-line block ×4, first 2 shown]
	v_add_f64 v[36:37], v[0:1], -v[16:17]
	v_add_f64 v[0:1], v[16:17], v[0:1]
	v_add_f64 v[20:21], v[18:19], v[2:3]
	v_add_f64 v[2:3], v[2:3], -v[18:19]
	v_add_f64 v[16:17], v[28:29], v[30:31]
	v_add_f64 v[42:43], v[14:15], -v[10:11]
	;; [unrolled: 2-line block ×3, first 2 shown]
	v_add_f64 v[22:23], v[36:37], -v[12:13]
	v_add_f64 v[26:27], v[34:35], -v[0:1]
	;; [unrolled: 1-line block ×5, first 2 shown]
	v_add_f64 v[12:13], v[36:37], v[12:13]
	v_add_f64 v[36:37], v[8:9], -v[36:37]
	v_add_f64 v[14:15], v[2:3], v[14:15]
	v_add_f64 v[48:49], v[10:11], -v[2:3]
	;; [unrolled: 2-line block ×3, first 2 shown]
	v_add_f64 v[18:19], v[0:1], v[18:19]
	v_mul_f64 v[46:47], v[38:39], s[4:5]
	v_mul_f64 v[22:23], v[22:23], s[18:19]
	v_mul_f64 v[26:27], v[26:27], s[14:15]
	v_mul_f64 v[24:25], v[24:25], s[14:15]
	v_add_f64 v[8:9], v[12:13], v[8:9]
	v_add_f64 v[10:11], v[14:15], v[10:11]
	;; [unrolled: 1-line block ×3, first 2 shown]
	v_add_f64 v[6:7], v[28:29], -v[30:31]
	v_mul_f64 v[28:29], v[20:21], s[6:7]
	v_mul_f64 v[30:31], v[40:41], s[18:19]
	v_add_f64 v[0:1], v[4:5], v[18:19]
	v_mul_f64 v[40:41], v[42:43], s[4:5]
	v_add_f64 v[4:5], v[32:33], -v[34:35]
	v_mul_f64 v[32:33], v[44:45], s[6:7]
	v_fma_f64 v[12:13], v[36:37], s[22:23], v[22:23]
	v_fma_f64 v[14:15], v[20:21], s[6:7], v[24:25]
	;; [unrolled: 1-line block ×3, first 2 shown]
	v_fma_f64 v[34:35], v[36:37], s[26:27], -v[46:47]
	v_fma_f64 v[22:23], v[38:39], s[4:5], -v[22:23]
	v_fma_f64 v[16:17], v[16:17], s[8:9], v[2:3]
	v_fma_f64 v[24:25], v[6:7], s[20:21], -v[24:25]
	v_fma_f64 v[6:7], v[6:7], s[16:17], -v[28:29]
	v_fma_f64 v[28:29], v[48:49], s[22:23], v[30:31]
	v_fma_f64 v[18:19], v[18:19], s[8:9], v[0:1]
	v_fma_f64 v[36:37], v[48:49], s[26:27], -v[40:41]
	v_fma_f64 v[26:27], v[4:5], s[20:21], -v[26:27]
	;; [unrolled: 1-line block ×4, first 2 shown]
	v_fma_f64 v[12:13], v[8:9], s[24:25], v[12:13]
	v_fma_f64 v[32:33], v[8:9], s[24:25], v[34:35]
	;; [unrolled: 1-line block ×3, first 2 shown]
	v_add_f64 v[34:35], v[14:15], v[16:17]
	v_add_f64 v[22:23], v[24:25], v[16:17]
	;; [unrolled: 1-line block ×3, first 2 shown]
	v_fma_f64 v[28:29], v[10:11], s[24:25], v[28:29]
	v_add_f64 v[38:39], v[20:21], v[18:19]
	v_fma_f64 v[36:37], v[10:11], s[24:25], v[36:37]
	v_add_f64 v[40:41], v[26:27], v[18:19]
	;; [unrolled: 2-line block ×3, first 2 shown]
	v_add_f64 v[26:27], v[34:35], -v[12:13]
	v_add_f64 v[10:11], v[32:33], v[22:23]
	v_add_f64 v[22:23], v[22:23], -v[32:33]
	v_add_f64 v[14:15], v[16:17], -v[8:9]
	v_add_f64 v[24:25], v[28:29], v[38:39]
	v_add_f64 v[18:19], v[8:9], v[16:17]
	v_add_f64 v[20:21], v[36:37], v[40:41]
	v_add_f64 v[6:7], v[12:13], v[34:35]
	v_add_f64 v[16:17], v[4:5], -v[30:31]
	v_add_f64 v[12:13], v[30:31], v[4:5]
	v_add_f64 v[8:9], v[40:41], -v[36:37]
	v_add_f64 v[4:5], v[38:39], -v[28:29]
	v_lshl_add_u32 v28, v64, 4, 0
	ds_write_b128 v28, v[0:3] offset:17920
	ds_write_b128 v28, v[24:27] offset:18560
	;; [unrolled: 1-line block ×7, first 2 shown]
.LBB0_35:
	s_or_b32 exec_lo, exec_lo, s1
	v_lshlrev_b32_e32 v190, 2, v186
	s_waitcnt lgkmcnt(0)
	s_barrier
	buffer_gl0_inv
	s_mov_b32 s8, 0x134454ff
	v_lshlrev_b64 v[0:1], 4, v[190:191]
	v_lshlrev_b32_e32 v190, 2, v195
	s_mov_b32 s9, 0xbfee6f0e
	s_mov_b32 s4, 0x4755a5e
	;; [unrolled: 1-line block ×4, first 2 shown]
	v_add_co_u32 v2, s0, s12, v0
	v_add_co_ci_u32_e64 v3, s0, s13, v1, s0
	v_lshlrev_b64 v[0:1], 4, v[190:191]
	v_add_co_u32 v8, s0, 0x1160, v2
	v_add_co_ci_u32_e64 v9, s0, 0, v3, s0
	v_add_co_u32 v2, s0, 0x1000, v2
	v_add_co_ci_u32_e64 v3, s0, 0, v3, s0
	v_add_co_u32 v12, s0, s12, v0
	v_lshlrev_b32_e32 v190, 2, v194
	v_add_co_ci_u32_e64 v13, s0, s13, v1, s0
	v_add_co_u32 v10, s0, 0x1000, v12
	v_lshlrev_b64 v[32:33], 4, v[190:191]
	v_add_co_ci_u32_e64 v11, s0, 0, v13, s0
	v_add_co_u32 v24, s0, 0x1160, v12
	v_add_co_ci_u32_e64 v25, s0, 0, v13, s0
	v_add_co_u32 v36, s0, s12, v32
	v_lshlrev_b32_e32 v190, 2, v193
	v_add_co_ci_u32_e64 v37, s0, s13, v33, s0
	v_add_co_u32 v32, s0, 0x1160, v36
	v_lshlrev_b64 v[34:35], 4, v[190:191]
	v_add_co_ci_u32_e64 v33, s0, 0, v37, s0
	v_add_co_u32 v36, s0, 0x1000, v36
	v_add_co_ci_u32_e64 v37, s0, 0, v37, s0
	v_add_co_u32 v38, s0, s12, v34
	v_add_co_ci_u32_e64 v39, s0, s13, v35, s0
	v_lshlrev_b32_e32 v190, 2, v187
	v_add_co_u32 v34, s0, 0x1000, v38
	v_add_co_ci_u32_e64 v35, s0, 0, v39, s0
	s_clause 0x9
	global_load_dwordx4 v[4:7], v[2:3], off offset:352
	global_load_dwordx4 v[0:3], v[8:9], off offset:48
	;; [unrolled: 1-line block ×10, first 2 shown]
	v_add_co_u32 v36, s0, 0x1160, v38
	v_add_co_ci_u32_e64 v37, s0, 0, v39, s0
	v_lshlrev_b64 v[38:39], 4, v[190:191]
	s_clause 0x5
	global_load_dwordx4 v[72:75], v[32:33], off offset:32
	global_load_dwordx4 v[80:83], v[32:33], off offset:16
	;; [unrolled: 1-line block ×6, first 2 shown]
	s_mov_b32 s6, s4
	v_add_co_u32 v34, s0, s12, v38
	v_add_co_ci_u32_e64 v35, s0, s13, v39, s0
	s_mov_b32 s13, 0x3fee6f0e
	v_add_co_u32 v32, s0, 0x1000, v34
	v_add_co_ci_u32_e64 v33, s0, 0, v35, s0
	v_add_co_u32 v34, s0, 0x1160, v34
	v_add_co_ci_u32_e64 v35, s0, 0, v35, s0
	s_clause 0x3
	global_load_dwordx4 v[84:87], v[32:33], off offset:352
	global_load_dwordx4 v[96:99], v[34:35], off offset:16
	;; [unrolled: 1-line block ×4, first 2 shown]
	ds_read_b128 v[52:55], v192
	ds_read_b128 v[44:47], v192 offset:896
	ds_read_b128 v[168:171], v192 offset:8960
	ds_read_b128 v[140:143], v192 offset:9856
	ds_read_b128 v[160:163], v192 offset:17920
	ds_read_b128 v[128:131], v192 offset:18816
	ds_read_b128 v[164:167], v192 offset:5376
	ds_read_b128 v[132:135], v192 offset:6272
	ds_read_b128 v[156:159], v192 offset:14336
	ds_read_b128 v[124:127], v192 offset:15232
	ds_read_b128 v[40:43], v192 offset:1792
	ds_read_b128 v[36:39], v192 offset:2688
	ds_read_b128 v[144:147], v192 offset:10752
	ds_read_b128 v[108:111], v192 offset:11648
	ds_read_b128 v[136:139], v192 offset:19712
	ds_read_b128 v[100:103], v192 offset:20608
	ds_read_b128 v[172:175], v192 offset:4480
	ds_read_b128 v[32:35], v192 offset:3584
	ds_read_b128 v[148:151], v192 offset:7168
	ds_read_b128 v[112:115], v192 offset:8064
	ds_read_b128 v[176:179], v192 offset:13440
	ds_read_b128 v[116:119], v192 offset:12544
	ds_read_b128 v[152:155], v192 offset:16128
	ds_read_b128 v[120:123], v192 offset:17024
	ds_read_b128 v[104:107], v192 offset:21504
	s_mov_b32 s12, s8
	s_mov_b32 s0, 0x372fe950
	;; [unrolled: 1-line block ×3, first 2 shown]
	s_waitcnt vmcnt(0) lgkmcnt(0)
	s_barrier
	buffer_gl0_inv
	v_mul_f64 v[180:181], v[174:175], v[6:7]
	v_mul_f64 v[6:7], v[172:173], v[6:7]
	v_mul_f64 v[182:183], v[170:171], v[30:31]
	v_mul_f64 v[30:31], v[168:169], v[30:31]
	v_mul_f64 v[190:191], v[178:179], v[18:19]
	v_mul_f64 v[18:19], v[176:177], v[18:19]
	v_mul_f64 v[193:194], v[162:163], v[2:3]
	v_mul_f64 v[2:3], v[160:161], v[2:3]
	v_mul_f64 v[195:196], v[166:167], v[22:23]
	v_mul_f64 v[22:23], v[164:165], v[22:23]
	v_mul_f64 v[197:198], v[142:143], v[26:27]
	v_mul_f64 v[26:27], v[140:141], v[26:27]
	v_mul_f64 v[199:200], v[158:159], v[14:15]
	v_mul_f64 v[14:15], v[156:157], v[14:15]
	v_mul_f64 v[201:202], v[130:131], v[10:11]
	v_mul_f64 v[10:11], v[128:129], v[10:11]
	v_mul_f64 v[203:204], v[134:135], v[58:59]
	v_mul_f64 v[58:59], v[132:133], v[58:59]
	v_mul_f64 v[205:206], v[146:147], v[82:83]
	v_mul_f64 v[82:83], v[144:145], v[82:83]
	v_mul_f64 v[207:208], v[126:127], v[74:75]
	v_mul_f64 v[74:75], v[124:125], v[74:75]
	v_mul_f64 v[209:210], v[138:139], v[50:51]
	v_mul_f64 v[50:51], v[136:137], v[50:51]
	v_mul_f64 v[211:212], v[150:151], v[66:67]
	v_mul_f64 v[66:67], v[148:149], v[66:67]
	v_mul_f64 v[213:214], v[110:111], v[78:79]
	v_mul_f64 v[78:79], v[108:109], v[78:79]
	v_mul_f64 v[215:216], v[154:155], v[70:71]
	v_mul_f64 v[70:71], v[152:153], v[70:71]
	v_mul_f64 v[217:218], v[102:103], v[62:63]
	v_mul_f64 v[62:63], v[100:101], v[62:63]
	v_mul_f64 v[219:220], v[114:115], v[86:87]
	v_mul_f64 v[86:87], v[112:113], v[86:87]
	v_fma_f64 v[172:173], v[172:173], v[4:5], v[180:181]
	v_fma_f64 v[4:5], v[174:175], v[4:5], -v[6:7]
	v_mul_f64 v[6:7], v[118:119], v[98:99]
	v_mul_f64 v[98:99], v[116:117], v[98:99]
	;; [unrolled: 1-line block ×4, first 2 shown]
	v_fma_f64 v[168:169], v[168:169], v[28:29], v[182:183]
	v_fma_f64 v[28:29], v[170:171], v[28:29], -v[30:31]
	v_mul_f64 v[30:31], v[106:107], v[90:91]
	v_mul_f64 v[90:91], v[104:105], v[90:91]
	v_fma_f64 v[170:171], v[176:177], v[16:17], v[190:191]
	v_fma_f64 v[16:17], v[178:179], v[16:17], -v[18:19]
	v_fma_f64 v[18:19], v[160:161], v[0:1], v[193:194]
	v_fma_f64 v[2:3], v[162:163], v[0:1], -v[2:3]
	;; [unrolled: 2-line block ×18, first 2 shown]
	v_add_f64 v[94:95], v[168:169], v[170:171]
	v_add_f64 v[106:107], v[172:173], v[18:19]
	;; [unrolled: 1-line block ×3, first 2 shown]
	v_add_f64 v[108:109], v[168:169], -v[172:173]
	v_add_f64 v[110:111], v[170:171], -v[18:19]
	v_add_f64 v[90:91], v[52:53], v[172:173]
	v_add_f64 v[112:113], v[54:55], v[4:5]
	v_add_f64 v[102:103], v[172:173], -v[168:169]
	v_add_f64 v[104:105], v[18:19], -v[170:171]
	v_add_f64 v[124:125], v[4:5], v[2:3]
	v_add_f64 v[98:99], v[4:5], -v[2:3]
	v_add_f64 v[120:121], v[4:5], -v[28:29]
	v_add_f64 v[122:123], v[2:3], -v[16:17]
	v_add_f64 v[4:5], v[28:29], -v[4:5]
	v_add_f64 v[126:127], v[16:17], -v[2:3]
	v_add_f64 v[128:129], v[44:45], v[0:1]
	v_add_f64 v[130:131], v[22:23], v[26:27]
	;; [unrolled: 1-line block ×5, first 2 shown]
	v_add_f64 v[136:137], v[0:1], -v[22:23]
	v_add_f64 v[138:139], v[14:15], -v[26:27]
	v_add_f64 v[142:143], v[22:23], -v[0:1]
	v_add_f64 v[150:151], v[0:1], -v[14:15]
	v_add_f64 v[0:1], v[20:21], -v[24:25]
	v_add_f64 v[154:155], v[8:9], -v[12:13]
	v_add_f64 v[156:157], v[20:21], v[8:9]
	v_add_f64 v[132:133], v[20:21], -v[8:9]
	v_add_f64 v[144:145], v[26:27], -v[14:15]
	;; [unrolled: 1-line block ×4, first 2 shown]
	v_add_f64 v[160:161], v[40:41], v[10:11]
	v_add_f64 v[162:163], v[58:59], v[82:83]
	v_add_f64 v[182:183], v[42:43], v[56:57]
	v_add_f64 v[190:191], v[80:81], v[72:73]
	v_add_f64 v[116:117], v[172:173], -v[18:19]
	v_add_f64 v[172:173], v[10:11], -v[58:59]
	v_add_f64 v[176:177], v[10:11], v[74:75]
	v_add_f64 v[178:179], v[58:59], -v[10:11]
	v_add_f64 v[193:194], v[10:11], -v[74:75]
	;; [unrolled: 1-line block ×4, first 2 shown]
	v_add_f64 v[199:200], v[56:57], v[48:49]
	v_add_f64 v[164:165], v[56:57], -v[48:49]
	v_add_f64 v[56:57], v[80:81], -v[56:57]
	;; [unrolled: 1-line block ×3, first 2 shown]
	v_add_f64 v[203:204], v[36:37], v[50:51]
	v_add_f64 v[205:206], v[66:67], v[78:79]
	;; [unrolled: 1-line block ×6, first 2 shown]
	v_add_f64 v[207:208], v[64:65], -v[60:61]
	v_add_f64 v[227:228], v[64:65], -v[76:77]
	;; [unrolled: 1-line block ×4, first 2 shown]
	v_add_f64 v[235:236], v[32:33], v[62:63]
	v_add_f64 v[237:238], v[6:7], v[96:97]
	;; [unrolled: 1-line block ×3, first 2 shown]
	v_fma_f64 v[94:95], v[94:95], -0.5, v[52:53]
	v_fma_f64 v[52:53], v[106:107], -0.5, v[52:53]
	;; [unrolled: 1-line block ×3, first 2 shown]
	v_add_f64 v[114:115], v[86:87], v[92:93]
	v_add_f64 v[247:248], v[62:63], v[30:31]
	;; [unrolled: 1-line block ×4, first 2 shown]
	v_add_f64 v[100:101], v[28:29], -v[16:17]
	v_add_f64 v[118:119], v[168:169], -v[170:171]
	;; [unrolled: 1-line block ×3, first 2 shown]
	v_add_f64 v[90:91], v[90:91], v[168:169]
	v_add_f64 v[168:169], v[84:85], -v[86:87]
	v_add_f64 v[84:85], v[86:87], -v[84:85]
	v_add_f64 v[28:29], v[112:113], v[28:29]
	v_add_f64 v[112:113], v[92:93], -v[88:89]
	v_fma_f64 v[54:55], v[124:125], -0.5, v[54:55]
	v_add_f64 v[102:103], v[102:103], v[104:105]
	v_add_f64 v[104:105], v[88:89], -v[92:93]
	v_add_f64 v[134:135], v[24:25], -v[12:13]
	;; [unrolled: 1-line block ×3, first 2 shown]
	v_add_f64 v[120:121], v[120:121], v[122:123]
	v_add_f64 v[122:123], v[4:5], v[126:127]
	;; [unrolled: 1-line block ×3, first 2 shown]
	v_fma_f64 v[22:23], v[130:131], -0.5, v[44:45]
	v_fma_f64 v[44:45], v[140:141], -0.5, v[44:45]
	v_add_f64 v[24:25], v[146:147], v[24:25]
	v_fma_f64 v[130:131], v[148:149], -0.5, v[46:47]
	v_add_f64 v[174:175], v[74:75], -v[82:83]
	v_add_f64 v[126:127], v[136:137], v[138:139]
	v_add_f64 v[136:137], v[0:1], v[154:155]
	v_fma_f64 v[0:1], v[156:157], -0.5, v[46:47]
	v_add_f64 v[166:167], v[80:81], -v[72:73]
	v_add_f64 v[195:196], v[58:59], -v[82:83]
	v_add_f64 v[128:129], v[142:143], v[144:145]
	v_add_f64 v[46:47], v[20:21], v[158:159]
	;; [unrolled: 1-line block ×3, first 2 shown]
	v_fma_f64 v[58:59], v[162:163], -0.5, v[40:41]
	v_add_f64 v[80:81], v[182:183], v[80:81]
	v_fma_f64 v[142:143], v[190:191], -0.5, v[42:43]
	v_add_f64 v[180:181], v[82:83], -v[74:75]
	v_fma_f64 v[40:41], v[176:177], -0.5, v[40:41]
	v_add_f64 v[144:145], v[10:11], v[197:198]
	v_fma_f64 v[10:11], v[199:200], -0.5, v[42:43]
	v_add_f64 v[209:210], v[76:77], -v[68:69]
	v_add_f64 v[211:212], v[50:51], -v[66:67]
	v_add_f64 v[217:218], v[66:67], -v[50:51]
	v_add_f64 v[50:51], v[50:51], -v[70:71]
	v_add_f64 v[146:147], v[56:57], v[201:202]
	v_add_f64 v[42:43], v[203:204], v[66:67]
	v_fma_f64 v[56:57], v[205:206], -0.5, v[36:37]
	v_add_f64 v[76:77], v[221:222], v[76:77]
	v_fma_f64 v[154:155], v[223:224], -0.5, v[38:39]
	v_add_f64 v[225:226], v[66:67], -v[78:79]
	v_fma_f64 v[36:37], v[215:216], -0.5, v[36:37]
	v_fma_f64 v[38:39], v[231:232], -0.5, v[38:39]
	v_add_f64 v[241:242], v[86:87], -v[92:93]
	v_add_f64 v[243:244], v[62:63], -v[6:7]
	;; [unrolled: 1-line block ×5, first 2 shown]
	v_add_f64 v[158:159], v[64:65], v[233:234]
	v_add_f64 v[6:7], v[235:236], v[6:7]
	v_fma_f64 v[64:65], v[237:238], -0.5, v[32:33]
	v_add_f64 v[86:87], v[253:254], v[86:87]
	v_fma_f64 v[114:115], v[114:115], -0.5, v[34:35]
	v_fma_f64 v[32:33], v[247:248], -0.5, v[32:33]
	;; [unrolled: 1-line block ×3, first 2 shown]
	v_add_f64 v[110:111], v[84:85], v[112:113]
	v_add_f64 v[84:85], v[90:91], v[170:171]
	v_fma_f64 v[90:91], v[98:99], s[8:9], v[94:95]
	v_fma_f64 v[94:95], v[98:99], s[12:13], v[94:95]
	;; [unrolled: 1-line block ×4, first 2 shown]
	v_add_f64 v[16:17], v[28:29], v[16:17]
	v_fma_f64 v[28:29], v[116:117], s[12:13], v[106:107]
	v_add_f64 v[104:105], v[168:169], v[104:105]
	v_fma_f64 v[106:107], v[116:117], s[8:9], v[106:107]
	v_fma_f64 v[168:169], v[118:119], s[8:9], v[54:55]
	;; [unrolled: 1-line block ×3, first 2 shown]
	v_add_f64 v[4:5], v[4:5], v[26:27]
	v_fma_f64 v[26:27], v[132:133], s[8:9], v[22:23]
	v_fma_f64 v[170:171], v[134:135], s[12:13], v[44:45]
	;; [unrolled: 1-line block ×3, first 2 shown]
	v_add_f64 v[12:13], v[24:25], v[12:13]
	v_fma_f64 v[24:25], v[150:151], s[12:13], v[130:131]
	v_add_f64 v[138:139], v[172:173], v[174:175]
	v_fma_f64 v[22:23], v[132:133], s[12:13], v[22:23]
	v_fma_f64 v[172:173], v[152:153], s[8:9], v[0:1]
	;; [unrolled: 1-line block ×4, first 2 shown]
	v_add_f64 v[20:21], v[20:21], v[82:83]
	v_fma_f64 v[82:83], v[164:165], s[8:9], v[58:59]
	v_add_f64 v[72:73], v[80:81], v[72:73]
	v_fma_f64 v[80:81], v[193:194], s[12:13], v[142:143]
	;; [unrolled: 2-line block ×3, first 2 shown]
	v_fma_f64 v[142:143], v[193:194], s[8:9], v[142:143]
	v_fma_f64 v[178:179], v[195:196], s[8:9], v[10:11]
	;; [unrolled: 1-line block ×5, first 2 shown]
	v_add_f64 v[213:214], v[70:71], -v[78:79]
	v_add_f64 v[219:220], v[78:79], -v[70:71]
	v_add_f64 v[229:230], v[60:61], -v[68:69]
	v_add_f64 v[42:43], v[42:43], v[78:79]
	v_fma_f64 v[78:79], v[207:208], s[8:9], v[56:57]
	v_add_f64 v[68:69], v[76:77], v[68:69]
	v_fma_f64 v[76:77], v[50:51], s[12:13], v[154:155]
	v_fma_f64 v[56:57], v[207:208], s[12:13], v[56:57]
	;; [unrolled: 1-line block ×7, first 2 shown]
	v_add_f64 v[245:246], v[30:31], -v[96:97]
	v_add_f64 v[251:252], v[96:97], -v[30:31]
	v_add_f64 v[96:97], v[6:7], v[96:97]
	v_fma_f64 v[197:198], v[239:240], s[8:9], v[64:65]
	v_add_f64 v[86:87], v[86:87], v[92:93]
	v_fma_f64 v[92:93], v[62:63], s[12:13], v[114:115]
	v_fma_f64 v[199:200], v[241:242], s[12:13], v[32:33]
	;; [unrolled: 1-line block ×7, first 2 shown]
	v_add_f64 v[0:1], v[84:85], v[18:19]
	v_fma_f64 v[84:85], v[100:101], s[4:5], v[90:91]
	v_fma_f64 v[90:91], v[100:101], s[6:7], v[94:95]
	;; [unrolled: 1-line block ×8, first 2 shown]
	v_add_f64 v[2:3], v[16:17], v[2:3]
	v_fma_f64 v[112:113], v[134:135], s[4:5], v[26:27]
	v_fma_f64 v[118:119], v[132:133], s[4:5], v[170:171]
	;; [unrolled: 1-line block ×8, first 2 shown]
	v_add_f64 v[4:5], v[4:5], v[14:15]
	v_add_f64 v[6:7], v[12:13], v[8:9]
	;; [unrolled: 1-line block ×3, first 2 shown]
	v_fma_f64 v[74:75], v[166:167], s[4:5], v[82:83]
	v_add_f64 v[10:11], v[72:73], v[48:49]
	v_fma_f64 v[72:73], v[195:196], s[6:7], v[80:81]
	v_fma_f64 v[82:83], v[164:165], s[4:5], v[176:177]
	;; [unrolled: 1-line block ×7, first 2 shown]
	v_add_f64 v[66:67], v[211:212], v[213:214]
	v_add_f64 v[156:157], v[227:228], v[229:230]
	;; [unrolled: 1-line block ×3, first 2 shown]
	v_fma_f64 v[70:71], v[209:210], s[4:5], v[78:79]
	v_fma_f64 v[76:77], v[225:226], s[6:7], v[76:77]
	v_add_f64 v[148:149], v[217:218], v[219:220]
	v_fma_f64 v[78:79], v[209:210], s[6:7], v[56:57]
	v_fma_f64 v[166:167], v[207:208], s[4:5], v[182:183]
	;; [unrolled: 1-line block ×6, first 2 shown]
	v_add_f64 v[160:161], v[243:244], v[245:246]
	v_add_f64 v[16:17], v[96:97], v[30:31]
	v_fma_f64 v[96:97], v[241:242], s[4:5], v[197:198]
	v_add_f64 v[18:19], v[86:87], v[88:89]
	v_fma_f64 v[86:87], v[124:125], s[6:7], v[92:93]
	;; [unrolled: 2-line block ×3, first 2 shown]
	v_fma_f64 v[92:93], v[62:63], s[6:7], v[201:202]
	v_fma_f64 v[178:179], v[239:240], s[6:7], v[32:33]
	;; [unrolled: 1-line block ×5, first 2 shown]
	v_add_f64 v[14:15], v[68:69], v[60:61]
	v_fma_f64 v[20:21], v[102:103], s[0:1], v[84:85]
	v_fma_f64 v[22:23], v[120:121], s[0:1], v[98:99]
	;; [unrolled: 1-line block ×8, first 2 shown]
	ds_write_b128 v192, v[0:3]
	v_fma_f64 v[0:1], v[126:127], s[0:1], v[112:113]
	v_fma_f64 v[2:3], v[136:137], s[0:1], v[132:133]
	;; [unrolled: 1-line block ×8, first 2 shown]
	ds_write_b128 v192, v[4:7] offset:896
	v_fma_f64 v[4:5], v[138:139], s[0:1], v[74:75]
	v_fma_f64 v[6:7], v[144:145], s[0:1], v[72:73]
	;; [unrolled: 1-line block ×8, first 2 shown]
	ds_write_b128 v192, v[8:11] offset:1792
	v_fma_f64 v[8:9], v[66:67], s[0:1], v[70:71]
	v_fma_f64 v[10:11], v[156:157], s[0:1], v[76:77]
	;; [unrolled: 1-line block ×16, first 2 shown]
	ds_write_b128 v192, v[12:15] offset:2688
	ds_write_b128 v192, v[16:19] offset:3584
	;; [unrolled: 1-line block ×22, first 2 shown]
	s_waitcnt lgkmcnt(0)
	s_barrier
	buffer_gl0_inv
	s_and_saveexec_b32 s0, vcc_lo
	s_cbranch_execz .LBB0_37
; %bb.36:
	v_mul_lo_u32 v2, s3, v188
	v_mul_lo_u32 v3, s2, v189
	v_mad_u64_u32 v[0:1], null, s2, v188, 0
	v_mov_b32_e32 v187, 0
	v_lshlrev_b64 v[8:9], 4, v[184:185]
	v_lshl_add_u32 v28, v186, 4, 0
	v_add_nc_u32_e32 v10, 56, v186
	v_add_nc_u32_e32 v12, 0x70, v186
	v_lshlrev_b64 v[14:15], 4, v[186:187]
	v_add3_u32 v1, v1, v3, v2
	v_mov_b32_e32 v11, v187
	v_mov_b32_e32 v13, v187
	v_add_nc_u32_e32 v22, 0xa8, v186
	v_mov_b32_e32 v23, v187
	v_lshlrev_b64 v[16:17], 4, v[0:1]
	ds_read_b128 v[0:3], v28
	ds_read_b128 v[4:7], v28 offset:896
	v_add_nc_u32_e32 v24, 0xe0, v186
	v_mov_b32_e32 v25, v187
	v_lshlrev_b64 v[22:23], 4, v[22:23]
	v_add_co_u32 v18, vcc_lo, s10, v16
	v_add_co_ci_u32_e32 v19, vcc_lo, s11, v17, vcc_lo
	v_lshlrev_b64 v[16:17], 4, v[10:11]
	v_add_co_u32 v30, vcc_lo, v18, v8
	v_add_co_ci_u32_e32 v31, vcc_lo, v19, v9, vcc_lo
	;; [unrolled: 3-line block ×3, first 2 shown]
	ds_read_b128 v[8:11], v28 offset:1792
	ds_read_b128 v[12:15], v28 offset:2688
	v_add_co_u32 v16, vcc_lo, v30, v16
	v_add_co_ci_u32_e32 v17, vcc_lo, v31, v17, vcc_lo
	v_add_co_u32 v18, vcc_lo, v30, v18
	v_add_co_ci_u32_e32 v19, vcc_lo, v31, v19, vcc_lo
	;; [unrolled: 2-line block ×3, first 2 shown]
	s_waitcnt lgkmcnt(3)
	global_store_dwordx4 v[20:21], v[0:3], off
	s_waitcnt lgkmcnt(2)
	global_store_dwordx4 v[16:17], v[4:7], off
	s_waitcnt lgkmcnt(1)
	global_store_dwordx4 v[18:19], v[8:11], off
	s_waitcnt lgkmcnt(0)
	global_store_dwordx4 v[22:23], v[12:15], off
	v_lshlrev_b64 v[0:1], 4, v[24:25]
	v_add_nc_u32_e32 v8, 0x118, v186
	v_mov_b32_e32 v9, v187
	v_add_nc_u32_e32 v10, 0x150, v186
	v_mov_b32_e32 v11, v187
	v_add_nc_u32_e32 v22, 0x188, v186
	v_add_co_u32 v16, vcc_lo, v30, v0
	v_add_co_ci_u32_e32 v17, vcc_lo, v31, v1, vcc_lo
	ds_read_b128 v[0:3], v28 offset:3584
	ds_read_b128 v[4:7], v28 offset:4480
	v_lshlrev_b64 v[18:19], 4, v[8:9]
	v_lshlrev_b64 v[20:21], 4, v[10:11]
	ds_read_b128 v[8:11], v28 offset:5376
	ds_read_b128 v[12:15], v28 offset:6272
	v_mov_b32_e32 v23, v187
	v_add_nc_u32_e32 v24, 0x1c0, v186
	v_add_co_u32 v18, vcc_lo, v30, v18
	v_lshlrev_b64 v[22:23], 4, v[22:23]
	v_add_co_ci_u32_e32 v19, vcc_lo, v31, v19, vcc_lo
	v_add_co_u32 v20, vcc_lo, v30, v20
	v_add_co_ci_u32_e32 v21, vcc_lo, v31, v21, vcc_lo
	v_add_co_u32 v22, vcc_lo, v30, v22
	v_add_co_ci_u32_e32 v23, vcc_lo, v31, v23, vcc_lo
	s_waitcnt lgkmcnt(3)
	global_store_dwordx4 v[16:17], v[0:3], off
	s_waitcnt lgkmcnt(2)
	global_store_dwordx4 v[18:19], v[4:7], off
	s_waitcnt lgkmcnt(1)
	global_store_dwordx4 v[20:21], v[8:11], off
	s_waitcnt lgkmcnt(0)
	global_store_dwordx4 v[22:23], v[12:15], off
	v_lshlrev_b64 v[0:1], 4, v[24:25]
	v_add_nc_u32_e32 v8, 0x1f8, v186
	v_mov_b32_e32 v9, v187
	v_add_nc_u32_e32 v10, 0x230, v186
	v_mov_b32_e32 v11, v187
	v_add_nc_u32_e32 v22, 0x268, v186
	v_add_co_u32 v16, vcc_lo, v30, v0
	v_add_co_ci_u32_e32 v17, vcc_lo, v31, v1, vcc_lo
	ds_read_b128 v[0:3], v28 offset:7168
	ds_read_b128 v[4:7], v28 offset:8064
	v_lshlrev_b64 v[18:19], 4, v[8:9]
	v_lshlrev_b64 v[20:21], 4, v[10:11]
	ds_read_b128 v[8:11], v28 offset:8960
	ds_read_b128 v[12:15], v28 offset:9856
	v_mov_b32_e32 v23, v187
	v_add_nc_u32_e32 v24, 0x2a0, v186
	v_add_co_u32 v18, vcc_lo, v30, v18
	v_lshlrev_b64 v[22:23], 4, v[22:23]
	v_add_co_ci_u32_e32 v19, vcc_lo, v31, v19, vcc_lo
	v_add_co_u32 v20, vcc_lo, v30, v20
	v_add_co_ci_u32_e32 v21, vcc_lo, v31, v21, vcc_lo
	v_add_co_u32 v22, vcc_lo, v30, v22
	v_add_co_ci_u32_e32 v23, vcc_lo, v31, v23, vcc_lo
	;; [unrolled: 31-line block ×3, first 2 shown]
	s_waitcnt lgkmcnt(3)
	global_store_dwordx4 v[16:17], v[0:3], off
	s_waitcnt lgkmcnt(2)
	global_store_dwordx4 v[18:19], v[4:7], off
	;; [unrolled: 2-line block ×4, first 2 shown]
	v_lshlrev_b64 v[0:1], 4, v[24:25]
	v_add_nc_u32_e32 v8, 0x3b8, v186
	v_mov_b32_e32 v9, v187
	v_add_nc_u32_e32 v10, 0x3f0, v186
	v_mov_b32_e32 v11, v187
	v_add_nc_u32_e32 v22, 0x428, v186
	v_add_co_u32 v16, vcc_lo, v30, v0
	v_add_co_ci_u32_e32 v17, vcc_lo, v31, v1, vcc_lo
	ds_read_b128 v[0:3], v28 offset:14336
	ds_read_b128 v[4:7], v28 offset:15232
	v_lshlrev_b64 v[18:19], 4, v[8:9]
	v_lshlrev_b64 v[20:21], 4, v[10:11]
	ds_read_b128 v[8:11], v28 offset:16128
	ds_read_b128 v[12:15], v28 offset:17024
	v_mov_b32_e32 v23, v187
	v_add_nc_u32_e32 v24, 0x460, v186
	v_add_co_u32 v18, vcc_lo, v30, v18
	v_lshlrev_b64 v[22:23], 4, v[22:23]
	v_add_co_ci_u32_e32 v19, vcc_lo, v31, v19, vcc_lo
	v_add_co_u32 v20, vcc_lo, v30, v20
	v_add_co_ci_u32_e32 v21, vcc_lo, v31, v21, vcc_lo
	v_add_co_u32 v22, vcc_lo, v30, v22
	s_waitcnt lgkmcnt(3)
	global_store_dwordx4 v[16:17], v[0:3], off
	s_waitcnt lgkmcnt(2)
	global_store_dwordx4 v[18:19], v[4:7], off
	v_add_nc_u32_e32 v2, 0x498, v186
	v_mov_b32_e32 v3, v187
	v_add_co_ci_u32_e32 v23, vcc_lo, v31, v23, vcc_lo
	v_lshlrev_b64 v[0:1], 4, v[24:25]
	s_waitcnt lgkmcnt(1)
	global_store_dwordx4 v[20:21], v[8:11], off
	s_waitcnt lgkmcnt(0)
	global_store_dwordx4 v[22:23], v[12:15], off
	v_lshlrev_b64 v[8:9], 4, v[2:3]
	v_add_nc_u32_e32 v10, 0x4d0, v186
	v_mov_b32_e32 v11, v187
	v_add_co_u32 v20, vcc_lo, v30, v0
	v_add_co_ci_u32_e32 v21, vcc_lo, v31, v1, vcc_lo
	v_add_co_u32 v22, vcc_lo, v30, v8
	ds_read_b128 v[0:3], v28 offset:17920
	ds_read_b128 v[4:7], v28 offset:18816
	v_add_co_ci_u32_e32 v23, vcc_lo, v31, v9, vcc_lo
	v_lshlrev_b64 v[26:27], 4, v[10:11]
	ds_read_b128 v[8:11], v28 offset:19712
	ds_read_b128 v[12:15], v28 offset:20608
	ds_read_b128 v[16:19], v28 offset:21504
	v_add_nc_u32_e32 v24, 0x508, v186
	v_add_nc_u32_e32 v186, 0x540, v186
	v_add_co_u32 v26, vcc_lo, v30, v26
	v_lshlrev_b64 v[24:25], 4, v[24:25]
	v_lshlrev_b64 v[28:29], 4, v[186:187]
	v_add_co_ci_u32_e32 v27, vcc_lo, v31, v27, vcc_lo
	v_add_co_u32 v24, vcc_lo, v30, v24
	v_add_co_ci_u32_e32 v25, vcc_lo, v31, v25, vcc_lo
	v_add_co_u32 v28, vcc_lo, v30, v28
	v_add_co_ci_u32_e32 v29, vcc_lo, v31, v29, vcc_lo
	s_waitcnt lgkmcnt(4)
	global_store_dwordx4 v[20:21], v[0:3], off
	s_waitcnt lgkmcnt(3)
	global_store_dwordx4 v[22:23], v[4:7], off
	;; [unrolled: 2-line block ×5, first 2 shown]
.LBB0_37:
	s_endpgm
	.section	.rodata,"a",@progbits
	.p2align	6, 0x0
	.amdhsa_kernel fft_rtc_back_len1400_factors_2_2_2_5_7_5_wgs_56_tpt_56_halfLds_dp_op_CI_CI_unitstride_sbrr_C2R_dirReg
		.amdhsa_group_segment_fixed_size 0
		.amdhsa_private_segment_fixed_size 0
		.amdhsa_kernarg_size 104
		.amdhsa_user_sgpr_count 6
		.amdhsa_user_sgpr_private_segment_buffer 1
		.amdhsa_user_sgpr_dispatch_ptr 0
		.amdhsa_user_sgpr_queue_ptr 0
		.amdhsa_user_sgpr_kernarg_segment_ptr 1
		.amdhsa_user_sgpr_dispatch_id 0
		.amdhsa_user_sgpr_flat_scratch_init 0
		.amdhsa_user_sgpr_private_segment_size 0
		.amdhsa_wavefront_size32 1
		.amdhsa_uses_dynamic_stack 0
		.amdhsa_system_sgpr_private_segment_wavefront_offset 0
		.amdhsa_system_sgpr_workgroup_id_x 1
		.amdhsa_system_sgpr_workgroup_id_y 0
		.amdhsa_system_sgpr_workgroup_id_z 0
		.amdhsa_system_sgpr_workgroup_info 0
		.amdhsa_system_vgpr_workitem_id 0
		.amdhsa_next_free_vgpr 255
		.amdhsa_next_free_sgpr 28
		.amdhsa_reserve_vcc 1
		.amdhsa_reserve_flat_scratch 0
		.amdhsa_float_round_mode_32 0
		.amdhsa_float_round_mode_16_64 0
		.amdhsa_float_denorm_mode_32 3
		.amdhsa_float_denorm_mode_16_64 3
		.amdhsa_dx10_clamp 1
		.amdhsa_ieee_mode 1
		.amdhsa_fp16_overflow 0
		.amdhsa_workgroup_processor_mode 1
		.amdhsa_memory_ordered 1
		.amdhsa_forward_progress 0
		.amdhsa_shared_vgpr_count 0
		.amdhsa_exception_fp_ieee_invalid_op 0
		.amdhsa_exception_fp_denorm_src 0
		.amdhsa_exception_fp_ieee_div_zero 0
		.amdhsa_exception_fp_ieee_overflow 0
		.amdhsa_exception_fp_ieee_underflow 0
		.amdhsa_exception_fp_ieee_inexact 0
		.amdhsa_exception_int_div_zero 0
	.end_amdhsa_kernel
	.text
.Lfunc_end0:
	.size	fft_rtc_back_len1400_factors_2_2_2_5_7_5_wgs_56_tpt_56_halfLds_dp_op_CI_CI_unitstride_sbrr_C2R_dirReg, .Lfunc_end0-fft_rtc_back_len1400_factors_2_2_2_5_7_5_wgs_56_tpt_56_halfLds_dp_op_CI_CI_unitstride_sbrr_C2R_dirReg
                                        ; -- End function
	.section	.AMDGPU.csdata,"",@progbits
; Kernel info:
; codeLenInByte = 22036
; NumSgprs: 30
; NumVgprs: 255
; ScratchSize: 0
; MemoryBound: 0
; FloatMode: 240
; IeeeMode: 1
; LDSByteSize: 0 bytes/workgroup (compile time only)
; SGPRBlocks: 3
; VGPRBlocks: 31
; NumSGPRsForWavesPerEU: 30
; NumVGPRsForWavesPerEU: 255
; Occupancy: 4
; WaveLimiterHint : 1
; COMPUTE_PGM_RSRC2:SCRATCH_EN: 0
; COMPUTE_PGM_RSRC2:USER_SGPR: 6
; COMPUTE_PGM_RSRC2:TRAP_HANDLER: 0
; COMPUTE_PGM_RSRC2:TGID_X_EN: 1
; COMPUTE_PGM_RSRC2:TGID_Y_EN: 0
; COMPUTE_PGM_RSRC2:TGID_Z_EN: 0
; COMPUTE_PGM_RSRC2:TIDIG_COMP_CNT: 0
	.text
	.p2alignl 6, 3214868480
	.fill 48, 4, 3214868480
	.type	__hip_cuid_4e98d97a688a4f1f,@object ; @__hip_cuid_4e98d97a688a4f1f
	.section	.bss,"aw",@nobits
	.globl	__hip_cuid_4e98d97a688a4f1f
__hip_cuid_4e98d97a688a4f1f:
	.byte	0                               ; 0x0
	.size	__hip_cuid_4e98d97a688a4f1f, 1

	.ident	"AMD clang version 19.0.0git (https://github.com/RadeonOpenCompute/llvm-project roc-6.4.0 25133 c7fe45cf4b819c5991fe208aaa96edf142730f1d)"
	.section	".note.GNU-stack","",@progbits
	.addrsig
	.addrsig_sym __hip_cuid_4e98d97a688a4f1f
	.amdgpu_metadata
---
amdhsa.kernels:
  - .args:
      - .actual_access:  read_only
        .address_space:  global
        .offset:         0
        .size:           8
        .value_kind:     global_buffer
      - .offset:         8
        .size:           8
        .value_kind:     by_value
      - .actual_access:  read_only
        .address_space:  global
        .offset:         16
        .size:           8
        .value_kind:     global_buffer
      - .actual_access:  read_only
        .address_space:  global
        .offset:         24
        .size:           8
        .value_kind:     global_buffer
      - .actual_access:  read_only
        .address_space:  global
        .offset:         32
        .size:           8
        .value_kind:     global_buffer
      - .offset:         40
        .size:           8
        .value_kind:     by_value
      - .actual_access:  read_only
        .address_space:  global
        .offset:         48
        .size:           8
        .value_kind:     global_buffer
      - .actual_access:  read_only
        .address_space:  global
        .offset:         56
        .size:           8
        .value_kind:     global_buffer
      - .offset:         64
        .size:           4
        .value_kind:     by_value
      - .actual_access:  read_only
        .address_space:  global
        .offset:         72
        .size:           8
        .value_kind:     global_buffer
      - .actual_access:  read_only
        .address_space:  global
        .offset:         80
        .size:           8
        .value_kind:     global_buffer
      - .actual_access:  read_only
        .address_space:  global
        .offset:         88
        .size:           8
        .value_kind:     global_buffer
      - .actual_access:  write_only
        .address_space:  global
        .offset:         96
        .size:           8
        .value_kind:     global_buffer
    .group_segment_fixed_size: 0
    .kernarg_segment_align: 8
    .kernarg_segment_size: 104
    .language:       OpenCL C
    .language_version:
      - 2
      - 0
    .max_flat_workgroup_size: 56
    .name:           fft_rtc_back_len1400_factors_2_2_2_5_7_5_wgs_56_tpt_56_halfLds_dp_op_CI_CI_unitstride_sbrr_C2R_dirReg
    .private_segment_fixed_size: 0
    .sgpr_count:     30
    .sgpr_spill_count: 0
    .symbol:         fft_rtc_back_len1400_factors_2_2_2_5_7_5_wgs_56_tpt_56_halfLds_dp_op_CI_CI_unitstride_sbrr_C2R_dirReg.kd
    .uniform_work_group_size: 1
    .uses_dynamic_stack: false
    .vgpr_count:     255
    .vgpr_spill_count: 0
    .wavefront_size: 32
    .workgroup_processor_mode: 1
amdhsa.target:   amdgcn-amd-amdhsa--gfx1030
amdhsa.version:
  - 1
  - 2
...

	.end_amdgpu_metadata
